;; amdgpu-corpus repo=ROCm/rocFFT kind=compiled arch=gfx906 opt=O3
	.text
	.amdgcn_target "amdgcn-amd-amdhsa--gfx906"
	.amdhsa_code_object_version 6
	.protected	fft_rtc_fwd_len4050_factors_10_5_3_3_3_3_wgs_135_tpt_135_halfLds_sp_ip_CI_unitstride_sbrr_R2C_dirReg ; -- Begin function fft_rtc_fwd_len4050_factors_10_5_3_3_3_3_wgs_135_tpt_135_halfLds_sp_ip_CI_unitstride_sbrr_R2C_dirReg
	.globl	fft_rtc_fwd_len4050_factors_10_5_3_3_3_3_wgs_135_tpt_135_halfLds_sp_ip_CI_unitstride_sbrr_R2C_dirReg
	.p2align	8
	.type	fft_rtc_fwd_len4050_factors_10_5_3_3_3_3_wgs_135_tpt_135_halfLds_sp_ip_CI_unitstride_sbrr_R2C_dirReg,@function
fft_rtc_fwd_len4050_factors_10_5_3_3_3_3_wgs_135_tpt_135_halfLds_sp_ip_CI_unitstride_sbrr_R2C_dirReg: ; @fft_rtc_fwd_len4050_factors_10_5_3_3_3_3_wgs_135_tpt_135_halfLds_sp_ip_CI_unitstride_sbrr_R2C_dirReg
; %bb.0:
	s_load_dwordx2 s[2:3], s[4:5], 0x50
	s_load_dwordx4 s[8:11], s[4:5], 0x0
	s_load_dwordx2 s[12:13], s[4:5], 0x18
	v_mul_u32_u24_e32 v1, 0x1e6, v0
	v_add_u32_sdwa v5, s6, v1 dst_sel:DWORD dst_unused:UNUSED_PAD src0_sel:DWORD src1_sel:WORD_1
	v_mov_b32_e32 v3, 0
	s_waitcnt lgkmcnt(0)
	v_cmp_lt_u64_e64 s[0:1], s[10:11], 2
	v_mov_b32_e32 v1, 0
	v_mov_b32_e32 v6, v3
	s_and_b64 vcc, exec, s[0:1]
	v_mov_b32_e32 v2, 0
	s_cbranch_vccnz .LBB0_8
; %bb.1:
	s_load_dwordx2 s[0:1], s[4:5], 0x10
	s_add_u32 s6, s12, 8
	s_addc_u32 s7, s13, 0
	v_mov_b32_e32 v1, 0
	v_mov_b32_e32 v2, 0
	s_waitcnt lgkmcnt(0)
	s_add_u32 s14, s0, 8
	s_addc_u32 s15, s1, 0
	s_mov_b64 s[16:17], 1
.LBB0_2:                                ; =>This Inner Loop Header: Depth=1
	s_load_dwordx2 s[18:19], s[14:15], 0x0
                                        ; implicit-def: $vgpr7_vgpr8
	s_waitcnt lgkmcnt(0)
	v_or_b32_e32 v4, s19, v6
	v_cmp_ne_u64_e32 vcc, 0, v[3:4]
	s_and_saveexec_b64 s[0:1], vcc
	s_xor_b64 s[20:21], exec, s[0:1]
	s_cbranch_execz .LBB0_4
; %bb.3:                                ;   in Loop: Header=BB0_2 Depth=1
	v_cvt_f32_u32_e32 v4, s18
	v_cvt_f32_u32_e32 v7, s19
	s_sub_u32 s0, 0, s18
	s_subb_u32 s1, 0, s19
	v_mac_f32_e32 v4, 0x4f800000, v7
	v_rcp_f32_e32 v4, v4
	v_mul_f32_e32 v4, 0x5f7ffffc, v4
	v_mul_f32_e32 v7, 0x2f800000, v4
	v_trunc_f32_e32 v7, v7
	v_mac_f32_e32 v4, 0xcf800000, v7
	v_cvt_u32_f32_e32 v7, v7
	v_cvt_u32_f32_e32 v4, v4
	v_mul_lo_u32 v8, s0, v7
	v_mul_hi_u32 v9, s0, v4
	v_mul_lo_u32 v11, s1, v4
	v_mul_lo_u32 v10, s0, v4
	v_add_u32_e32 v8, v9, v8
	v_add_u32_e32 v8, v8, v11
	v_mul_hi_u32 v9, v4, v10
	v_mul_lo_u32 v11, v4, v8
	v_mul_hi_u32 v13, v4, v8
	v_mul_hi_u32 v12, v7, v10
	v_mul_lo_u32 v10, v7, v10
	v_mul_hi_u32 v14, v7, v8
	v_add_co_u32_e32 v9, vcc, v9, v11
	v_addc_co_u32_e32 v11, vcc, 0, v13, vcc
	v_mul_lo_u32 v8, v7, v8
	v_add_co_u32_e32 v9, vcc, v9, v10
	v_addc_co_u32_e32 v9, vcc, v11, v12, vcc
	v_addc_co_u32_e32 v10, vcc, 0, v14, vcc
	v_add_co_u32_e32 v8, vcc, v9, v8
	v_addc_co_u32_e32 v9, vcc, 0, v10, vcc
	v_add_co_u32_e32 v4, vcc, v4, v8
	v_addc_co_u32_e32 v7, vcc, v7, v9, vcc
	v_mul_lo_u32 v8, s0, v7
	v_mul_hi_u32 v9, s0, v4
	v_mul_lo_u32 v10, s1, v4
	v_mul_lo_u32 v11, s0, v4
	v_add_u32_e32 v8, v9, v8
	v_add_u32_e32 v8, v8, v10
	v_mul_lo_u32 v12, v4, v8
	v_mul_hi_u32 v13, v4, v11
	v_mul_hi_u32 v14, v4, v8
	;; [unrolled: 1-line block ×3, first 2 shown]
	v_mul_lo_u32 v11, v7, v11
	v_mul_hi_u32 v9, v7, v8
	v_add_co_u32_e32 v12, vcc, v13, v12
	v_addc_co_u32_e32 v13, vcc, 0, v14, vcc
	v_mul_lo_u32 v8, v7, v8
	v_add_co_u32_e32 v11, vcc, v12, v11
	v_addc_co_u32_e32 v10, vcc, v13, v10, vcc
	v_addc_co_u32_e32 v9, vcc, 0, v9, vcc
	v_add_co_u32_e32 v8, vcc, v10, v8
	v_addc_co_u32_e32 v9, vcc, 0, v9, vcc
	v_add_co_u32_e32 v4, vcc, v4, v8
	v_addc_co_u32_e32 v9, vcc, v7, v9, vcc
	v_mad_u64_u32 v[7:8], s[0:1], v5, v9, 0
	v_mul_hi_u32 v10, v5, v4
	v_add_co_u32_e32 v11, vcc, v10, v7
	v_addc_co_u32_e32 v12, vcc, 0, v8, vcc
	v_mad_u64_u32 v[7:8], s[0:1], v6, v4, 0
	v_mad_u64_u32 v[9:10], s[0:1], v6, v9, 0
	v_add_co_u32_e32 v4, vcc, v11, v7
	v_addc_co_u32_e32 v4, vcc, v12, v8, vcc
	v_addc_co_u32_e32 v7, vcc, 0, v10, vcc
	v_add_co_u32_e32 v4, vcc, v4, v9
	v_addc_co_u32_e32 v9, vcc, 0, v7, vcc
	v_mul_lo_u32 v10, s19, v4
	v_mul_lo_u32 v11, s18, v9
	v_mad_u64_u32 v[7:8], s[0:1], s18, v4, 0
	v_add3_u32 v8, v8, v11, v10
	v_sub_u32_e32 v10, v6, v8
	v_mov_b32_e32 v11, s19
	v_sub_co_u32_e32 v7, vcc, v5, v7
	v_subb_co_u32_e64 v10, s[0:1], v10, v11, vcc
	v_subrev_co_u32_e64 v11, s[0:1], s18, v7
	v_subbrev_co_u32_e64 v10, s[0:1], 0, v10, s[0:1]
	v_cmp_le_u32_e64 s[0:1], s19, v10
	v_cndmask_b32_e64 v12, 0, -1, s[0:1]
	v_cmp_le_u32_e64 s[0:1], s18, v11
	v_cndmask_b32_e64 v11, 0, -1, s[0:1]
	v_cmp_eq_u32_e64 s[0:1], s19, v10
	v_cndmask_b32_e64 v10, v12, v11, s[0:1]
	v_add_co_u32_e64 v11, s[0:1], 2, v4
	v_addc_co_u32_e64 v12, s[0:1], 0, v9, s[0:1]
	v_add_co_u32_e64 v13, s[0:1], 1, v4
	v_addc_co_u32_e64 v14, s[0:1], 0, v9, s[0:1]
	v_subb_co_u32_e32 v8, vcc, v6, v8, vcc
	v_cmp_ne_u32_e64 s[0:1], 0, v10
	v_cmp_le_u32_e32 vcc, s19, v8
	v_cndmask_b32_e64 v10, v14, v12, s[0:1]
	v_cndmask_b32_e64 v12, 0, -1, vcc
	v_cmp_le_u32_e32 vcc, s18, v7
	v_cndmask_b32_e64 v7, 0, -1, vcc
	v_cmp_eq_u32_e32 vcc, s19, v8
	v_cndmask_b32_e32 v7, v12, v7, vcc
	v_cmp_ne_u32_e32 vcc, 0, v7
	v_cndmask_b32_e64 v7, v13, v11, s[0:1]
	v_cndmask_b32_e32 v8, v9, v10, vcc
	v_cndmask_b32_e32 v7, v4, v7, vcc
.LBB0_4:                                ;   in Loop: Header=BB0_2 Depth=1
	s_andn2_saveexec_b64 s[0:1], s[20:21]
	s_cbranch_execz .LBB0_6
; %bb.5:                                ;   in Loop: Header=BB0_2 Depth=1
	v_cvt_f32_u32_e32 v4, s18
	s_sub_i32 s20, 0, s18
	v_rcp_iflag_f32_e32 v4, v4
	v_mul_f32_e32 v4, 0x4f7ffffe, v4
	v_cvt_u32_f32_e32 v4, v4
	v_mul_lo_u32 v7, s20, v4
	v_mul_hi_u32 v7, v4, v7
	v_add_u32_e32 v4, v4, v7
	v_mul_hi_u32 v4, v5, v4
	v_mul_lo_u32 v7, v4, s18
	v_add_u32_e32 v8, 1, v4
	v_sub_u32_e32 v7, v5, v7
	v_subrev_u32_e32 v9, s18, v7
	v_cmp_le_u32_e32 vcc, s18, v7
	v_cndmask_b32_e32 v7, v7, v9, vcc
	v_cndmask_b32_e32 v4, v4, v8, vcc
	v_add_u32_e32 v8, 1, v4
	v_cmp_le_u32_e32 vcc, s18, v7
	v_cndmask_b32_e32 v7, v4, v8, vcc
	v_mov_b32_e32 v8, v3
.LBB0_6:                                ;   in Loop: Header=BB0_2 Depth=1
	s_or_b64 exec, exec, s[0:1]
	v_mul_lo_u32 v4, v8, s18
	v_mul_lo_u32 v11, v7, s19
	v_mad_u64_u32 v[9:10], s[0:1], v7, s18, 0
	s_load_dwordx2 s[0:1], s[6:7], 0x0
	s_add_u32 s16, s16, 1
	v_add3_u32 v4, v10, v11, v4
	v_sub_co_u32_e32 v5, vcc, v5, v9
	v_subb_co_u32_e32 v4, vcc, v6, v4, vcc
	s_waitcnt lgkmcnt(0)
	v_mul_lo_u32 v4, s0, v4
	v_mul_lo_u32 v6, s1, v5
	v_mad_u64_u32 v[1:2], s[0:1], s0, v5, v[1:2]
	s_addc_u32 s17, s17, 0
	s_add_u32 s6, s6, 8
	v_add3_u32 v2, v6, v2, v4
	v_mov_b32_e32 v4, s10
	v_mov_b32_e32 v5, s11
	s_addc_u32 s7, s7, 0
	v_cmp_ge_u64_e32 vcc, s[16:17], v[4:5]
	s_add_u32 s14, s14, 8
	s_addc_u32 s15, s15, 0
	s_cbranch_vccnz .LBB0_9
; %bb.7:                                ;   in Loop: Header=BB0_2 Depth=1
	v_mov_b32_e32 v5, v7
	v_mov_b32_e32 v6, v8
	s_branch .LBB0_2
.LBB0_8:
	v_mov_b32_e32 v8, v6
	v_mov_b32_e32 v7, v5
.LBB0_9:
	s_lshl_b64 s[0:1], s[10:11], 3
	s_add_u32 s0, s12, s0
	s_addc_u32 s1, s13, s1
	s_load_dwordx2 s[6:7], s[0:1], 0x0
	s_load_dwordx2 s[10:11], s[4:5], 0x20
                                        ; implicit-def: $vgpr64
                                        ; implicit-def: $vgpr75
                                        ; implicit-def: $vgpr69
                                        ; implicit-def: $vgpr74
                                        ; implicit-def: $vgpr71
                                        ; implicit-def: $vgpr73
                                        ; implicit-def: $vgpr68
                                        ; implicit-def: $vgpr67
                                        ; implicit-def: $vgpr66
	s_waitcnt lgkmcnt(0)
	v_mad_u64_u32 v[1:2], s[0:1], s6, v7, v[1:2]
	s_mov_b32 s0, 0x1e573ad
	v_mul_lo_u32 v3, s6, v8
	v_mul_lo_u32 v4, s7, v7
	v_mul_hi_u32 v5, v0, s0
	v_cmp_gt_u64_e64 s[0:1], s[10:11], v[7:8]
	v_cmp_le_u64_e32 vcc, s[10:11], v[7:8]
	v_add3_u32 v2, v4, v2, v3
	v_mul_u32_u24_e32 v3, 0x87, v5
	v_sub_u32_e32 v60, v0, v3
	s_and_saveexec_b64 s[4:5], vcc
	s_xor_b64 s[4:5], exec, s[4:5]
; %bb.10:
	v_add_u32_e32 v64, 0x87, v60
	v_add_u32_e32 v75, 0x10e, v60
	;; [unrolled: 1-line block ×9, first 2 shown]
; %bb.11:
	s_or_saveexec_b64 s[4:5], s[4:5]
	v_lshlrev_b64 v[62:63], 3, v[1:2]
	s_xor_b64 exec, exec, s[4:5]
	s_cbranch_execz .LBB0_13
; %bb.12:
	v_mov_b32_e32 v61, 0
	v_mov_b32_e32 v0, s3
	v_add_co_u32_e32 v2, vcc, s2, v62
	v_addc_co_u32_e32 v3, vcc, v0, v63, vcc
	v_lshlrev_b64 v[0:1], 3, v[60:61]
	s_movk_i32 s6, 0x1000
	v_add_co_u32_e32 v0, vcc, v2, v0
	v_addc_co_u32_e32 v1, vcc, v3, v1, vcc
	v_add_co_u32_e32 v4, vcc, s6, v0
	v_addc_co_u32_e32 v5, vcc, 0, v1, vcc
	s_movk_i32 s6, 0x2000
	global_load_dwordx2 v[2:3], v[0:1], off offset:3240
	global_load_dwordx2 v[6:7], v[4:5], off offset:224
	;; [unrolled: 1-line block ×5, first 2 shown]
	v_add_co_u32_e32 v4, vcc, s6, v0
	v_addc_co_u32_e32 v5, vcc, 0, v1, vcc
	s_movk_i32 s6, 0x3000
	global_load_dwordx2 v[14:15], v[4:5], off offset:448
	global_load_dwordx2 v[16:17], v[4:5], off offset:1528
	global_load_dwordx2 v[18:19], v[4:5], off offset:2608
	global_load_dwordx2 v[20:21], v[4:5], off offset:3688
	global_load_dwordx2 v[22:23], v[0:1], off
	global_load_dwordx2 v[24:25], v[0:1], off offset:2160
	global_load_dwordx2 v[26:27], v[0:1], off offset:1080
	v_add_co_u32_e32 v4, vcc, s6, v0
	v_addc_co_u32_e32 v5, vcc, 0, v1, vcc
	s_movk_i32 s6, 0x4000
	global_load_dwordx2 v[28:29], v[4:5], off offset:672
	global_load_dwordx2 v[30:31], v[4:5], off offset:1752
	;; [unrolled: 1-line block ×4, first 2 shown]
	v_add_co_u32_e32 v4, vcc, s6, v0
	v_addc_co_u32_e32 v5, vcc, 0, v1, vcc
	s_movk_i32 s6, 0x5000
	v_add_co_u32_e32 v36, vcc, s6, v0
	v_addc_co_u32_e32 v37, vcc, 0, v1, vcc
	global_load_dwordx2 v[38:39], v[4:5], off offset:896
	global_load_dwordx2 v[40:41], v[4:5], off offset:1976
	;; [unrolled: 1-line block ×4, first 2 shown]
	s_movk_i32 s6, 0x6000
	v_add_co_u32_e32 v4, vcc, s6, v0
	v_addc_co_u32_e32 v5, vcc, 0, v1, vcc
	global_load_dwordx2 v[46:47], v[36:37], off offset:1120
	global_load_dwordx2 v[48:49], v[36:37], off offset:2200
	;; [unrolled: 1-line block ×6, first 2 shown]
	v_add_co_u32_e32 v0, vcc, 0x7000, v0
	v_addc_co_u32_e32 v1, vcc, 0, v1, vcc
	global_load_dwordx2 v[36:37], v[4:5], off offset:3504
	global_load_dwordx2 v[58:59], v[0:1], off offset:488
	;; [unrolled: 1-line block ×4, first 2 shown]
	v_lshl_add_u32 v0, v60, 3, 0
	v_add_u32_e32 v1, 0x800, v0
	v_add_u32_e32 v4, 0x1000, v0
	;; [unrolled: 1-line block ×10, first 2 shown]
	s_waitcnt vmcnt(19)
	ds_write2_b64 v1, v[24:25], v[2:3] offset0:14 offset1:149
	ds_write2_b64 v4, v[6:7], v[8:9] offset0:28 offset1:163
	;; [unrolled: 1-line block ×4, first 2 shown]
	v_add_u32_e32 v1, 0x2800, v0
	ds_write2_b64 v1, v[18:19], v[20:21] offset0:70 offset1:205
	v_add_u32_e32 v1, 0x3000, v0
	s_waitcnt vmcnt(18)
	ds_write2_b64 v0, v[22:23], v[26:27] offset1:135
	s_waitcnt vmcnt(16)
	ds_write2_b64 v1, v[28:29], v[30:31] offset0:84 offset1:219
	v_add_u32_e32 v1, 0x3800, v0
	s_waitcnt vmcnt(14)
	ds_write2_b64 v1, v[32:33], v[34:35] offset0:98 offset1:233
	v_add_u32_e32 v1, 0x4000, v0
	s_waitcnt vmcnt(12)
	ds_write2_b64 v1, v[38:39], v[40:41] offset0:112 offset1:247
	v_add_u32_e32 v1, 0x4a00, v0
	s_waitcnt vmcnt(10)
	ds_write2_b64 v1, v[42:43], v[44:45] offset0:62 offset1:197
	v_add_u32_e32 v1, 0x5400, v0
	s_waitcnt vmcnt(8)
	ds_write2_b64 v1, v[46:47], v[48:49] offset0:12 offset1:147
	v_add_u32_e32 v1, 0x5c00, v0
	s_waitcnt vmcnt(6)
	ds_write2_b64 v1, v[50:51], v[52:53] offset0:26 offset1:161
	v_add_u32_e32 v1, 0x6400, v0
	s_waitcnt vmcnt(4)
	ds_write2_b64 v1, v[54:55], v[56:57] offset0:40 offset1:175
	v_add_u32_e32 v1, 0x6c00, v0
	v_add_u32_e32 v0, 0x7400, v0
	s_waitcnt vmcnt(2)
	ds_write2_b64 v1, v[36:37], v[58:59] offset0:54 offset1:189
	s_waitcnt vmcnt(0)
	ds_write2_b64 v0, v[65:66], v[67:68] offset0:68 offset1:203
	v_add_u32_e32 v68, 0x3b1, v60
	v_add_u32_e32 v67, 0x438, v60
	;; [unrolled: 1-line block ×3, first 2 shown]
.LBB0_13:
	s_or_b64 exec, exec, s[4:5]
	v_lshlrev_b32_e32 v61, 3, v60
	v_add_u32_e32 v77, 0, v61
	v_add_u32_e32 v0, 0x1800, v77
	s_waitcnt lgkmcnt(0)
	s_barrier
	v_add_u32_e32 v72, 0x3000, v77
	v_add_u32_e32 v65, 0x4a00, v77
	;; [unrolled: 1-line block ×3, first 2 shown]
	ds_read2_b64 v[4:7], v0 offset0:42 offset1:177
	ds_read2_b64 v[8:11], v72 offset0:84 offset1:219
	;; [unrolled: 1-line block ×4, first 2 shown]
	v_add_u32_e32 v79, 0x3800, v77
	v_add_u32_e32 v76, 0x5400, v77
	s_waitcnt lgkmcnt(2)
	v_sub_f32_e32 v0, v4, v8
	v_add_u32_e32 v78, 0x6c00, v77
	s_waitcnt lgkmcnt(0)
	v_sub_f32_e32 v1, v16, v20
	v_add_f32_e32 v84, v0, v1
	v_add_u32_e32 v0, 0x2000, v77
	ds_read2_b64 v[28:31], v0 offset0:56 offset1:191
	ds_read2_b64 v[32:35], v79 offset0:98 offset1:233
	;; [unrolled: 1-line block ×4, first 2 shown]
	v_sub_f32_e32 v0, v5, v9
	v_sub_f32_e32 v1, v17, v21
	v_add_f32_e32 v85, v0, v1
	s_waitcnt lgkmcnt(2)
	v_sub_f32_e32 v0, v30, v34
	s_waitcnt lgkmcnt(0)
	v_sub_f32_e32 v1, v38, v42
	v_add_f32_e32 v86, v0, v1
	v_add_u32_e32 v0, 0x800, v77
	ds_read2_b64 v[0:3], v0 offset0:14 offset1:149
	v_sub_f32_e32 v12, v31, v35
	v_sub_f32_e32 v13, v39, v43
	v_add_f32_e32 v88, v12, v13
	v_add_f32_e32 v12, v34, v42
	s_waitcnt lgkmcnt(0)
	v_fma_f32 v87, -0.5, v12, v2
	ds_read2_b64 v[24:27], v77 offset1:135
	v_sub_f32_e32 v90, v31, v39
	v_mov_b32_e32 v12, v87
	v_fmac_f32_e32 v12, 0x3f737871, v90
	v_sub_f32_e32 v91, v35, v43
	v_fmac_f32_e32 v12, 0x3f167918, v91
	v_fmac_f32_e32 v12, 0x3e9e377a, v86
	v_mul_f32_e32 v95, 0x3f4f1bbd, v12
	v_mul_f32_e32 v96, 0xbf167918, v12
	s_waitcnt lgkmcnt(0)
	v_add_f32_e32 v12, v24, v4
	v_add_f32_e32 v12, v12, v8
	;; [unrolled: 1-line block ×5, first 2 shown]
	v_sub_f32_e32 v103, v4, v16
	v_sub_f32_e32 v105, v8, v20
	;; [unrolled: 1-line block ×3, first 2 shown]
	v_add_f32_e32 v4, v4, v16
	v_sub_f32_e32 v20, v20, v16
	v_fma_f32 v16, -0.5, v4, v24
	v_sub_f32_e32 v102, v9, v21
	v_add_f32_e32 v8, v8, v20
	v_mov_b32_e32 v20, v16
	v_sub_f32_e32 v101, v5, v17
	v_fmac_f32_e32 v20, 0xbf737871, v102
	v_fmac_f32_e32 v16, 0x3f737871, v102
	v_fma_f32 v94, -0.5, v12, v24
	v_add_f32_e32 v12, v25, v5
	v_fmac_f32_e32 v20, 0x3f167918, v101
	v_fmac_f32_e32 v16, 0xbf167918, v101
	v_add_f32_e32 v12, v12, v9
	v_fmac_f32_e32 v20, 0x3e9e377a, v8
	v_fmac_f32_e32 v16, 0x3e9e377a, v8
	v_sub_f32_e32 v4, v9, v5
	v_sub_f32_e32 v8, v21, v17
	v_add_f32_e32 v5, v5, v17
	v_add_f32_e32 v12, v12, v21
	;; [unrolled: 1-line block ×3, first 2 shown]
	v_fma_f32 v8, -0.5, v5, v25
	v_add_f32_e32 v104, v12, v17
	v_add_f32_e32 v12, v9, v21
	v_mov_b32_e32 v9, v8
	v_fmac_f32_e32 v9, 0x3f737871, v105
	v_fmac_f32_e32 v8, 0xbf737871, v105
	v_fmac_f32_e32 v9, 0xbf167918, v103
	v_fmac_f32_e32 v8, 0x3f167918, v103
	v_fmac_f32_e32 v9, 0x3e9e377a, v4
	v_fmac_f32_e32 v8, 0x3e9e377a, v4
	v_sub_f32_e32 v4, v34, v30
	v_sub_f32_e32 v5, v42, v38
	v_add_f32_e32 v4, v4, v5
	v_add_f32_e32 v5, v30, v38
	v_fma_f32 v97, -0.5, v12, v25
	v_add_f32_e32 v12, v2, v30
	v_fma_f32 v2, -0.5, v5, v2
	v_mov_b32_e32 v5, v2
	v_fmac_f32_e32 v5, 0xbf737871, v91
	v_fmac_f32_e32 v2, 0x3f737871, v91
	;; [unrolled: 1-line block ×4, first 2 shown]
	v_add_f32_e32 v12, v12, v34
	v_fmac_f32_e32 v5, 0x3e9e377a, v4
	v_fmac_f32_e32 v2, 0x3e9e377a, v4
	v_sub_f32_e32 v4, v35, v31
	v_sub_f32_e32 v17, v43, v39
	v_add_f32_e32 v13, v35, v43
	v_add_f32_e32 v12, v12, v42
	;; [unrolled: 1-line block ×4, first 2 shown]
	v_fma_f32 v89, -0.5, v13, v3
	v_add_f32_e32 v106, v12, v38
	v_add_f32_e32 v12, v3, v31
	v_fma_f32 v3, -0.5, v17, v3
	v_sub_f32_e32 v93, v34, v42
	v_mov_b32_e32 v17, v3
	v_sub_f32_e32 v92, v30, v38
	v_fmac_f32_e32 v17, 0x3f737871, v93
	v_fmac_f32_e32 v3, 0xbf737871, v93
	v_fmac_f32_e32 v17, 0xbf167918, v92
	v_fmac_f32_e32 v3, 0x3f167918, v92
	v_mov_b32_e32 v13, v89
	v_fmac_f32_e32 v17, 0x3e9e377a, v4
	v_fmac_f32_e32 v3, 0x3e9e377a, v4
	v_mul_f32_e32 v24, 0xbf737871, v5
	s_mov_b32 s7, 0x3f737871
	v_mul_f32_e32 v4, 0x3e9e377a, v2
	v_fmac_f32_e32 v13, 0xbf737871, v92
	v_add_f32_e32 v12, v12, v35
	v_mul_f32_e32 v21, 0x3f737871, v17
	v_fmac_f32_e32 v24, 0x3e9e377a, v17
	s_mov_b32 s4, 0xbf737871
	v_fma_f32 v17, v3, s7, -v4
	v_mul_f32_e32 v3, 0x3e9e377a, v3
	v_fmac_f32_e32 v87, 0xbf737871, v90
	v_fmac_f32_e32 v13, 0xbf167918, v93
	v_add_f32_e32 v12, v12, v43
	v_mul_u32_u24_e32 v112, 10, v60
	v_fmac_f32_e32 v21, 0x3e9e377a, v5
	v_fma_f32 v25, v2, s4, -v3
	v_fmac_f32_e32 v87, 0xbf167918, v91
	v_fmac_f32_e32 v89, 0x3f737871, v92
	;; [unrolled: 1-line block ×3, first 2 shown]
	v_add_f32_e32 v107, v12, v39
	v_add_u32_e32 v12, 0x1000, v77
	v_lshl_add_u32 v112, v112, 3, 0
	v_add_f32_e32 v2, v20, v21
	v_add_f32_e32 v3, v9, v24
	;; [unrolled: 1-line block ×4, first 2 shown]
	v_fmac_f32_e32 v87, 0x3e9e377a, v86
	v_fmac_f32_e32 v89, 0x3f167918, v93
	;; [unrolled: 1-line block ×4, first 2 shown]
	v_mov_b32_e32 v98, v94
	v_mov_b32_e32 v99, v97
	v_add_u32_e32 v83, 0x2800, v77
	v_add_u32_e32 v81, 0x4000, v77
	;; [unrolled: 1-line block ×4, first 2 shown]
	ds_read2_b64 v[12:15], v12 offset0:28 offset1:163
	ds_read2_b64 v[52:55], v83 offset0:70 offset1:205
	;; [unrolled: 1-line block ×5, first 2 shown]
	s_waitcnt lgkmcnt(0)
	s_barrier
	ds_write2_b64 v112, v[2:3], v[4:5] offset0:2 offset1:3
	v_fmac_f32_e32 v94, 0xbf737871, v101
	v_fmac_f32_e32 v97, 0x3f737871, v103
	;; [unrolled: 1-line block ×3, first 2 shown]
	s_mov_b32 s6, 0x3f167918
	v_mul_f32_e32 v4, 0x3f4f1bbd, v87
	v_fmac_f32_e32 v98, 0x3f737871, v101
	v_fmac_f32_e32 v99, 0xbf737871, v103
	v_fmac_f32_e32 v94, 0xbf167918, v102
	v_fmac_f32_e32 v97, 0x3f167918, v105
	s_mov_b32 s5, 0xbf167918
	v_fma_f32 v30, v89, s6, -v4
	v_mul_f32_e32 v4, 0x3f4f1bbd, v89
	v_fmac_f32_e32 v98, 0x3f167918, v102
	v_fmac_f32_e32 v99, 0xbf167918, v105
	;; [unrolled: 1-line block ×4, first 2 shown]
	v_fma_f32 v31, v87, s5, -v4
	v_fmac_f32_e32 v98, 0x3e9e377a, v84
	v_fmac_f32_e32 v99, 0x3e9e377a, v85
	v_sub_f32_e32 v2, v100, v106
	v_sub_f32_e32 v3, v104, v107
	v_add_f32_e32 v4, v94, v30
	v_add_f32_e32 v5, v97, v31
	ds_write2_b64 v112, v[4:5], v[2:3] offset0:4 offset1:5
	v_sub_f32_e32 v2, v98, v95
	v_sub_f32_e32 v3, v99, v96
	;; [unrolled: 1-line block ×4, first 2 shown]
	ds_write2_b64 v112, v[2:3], v[4:5] offset0:6 offset1:7
	v_sub_f32_e32 v2, v16, v17
	v_sub_f32_e32 v3, v8, v25
	;; [unrolled: 1-line block ×4, first 2 shown]
	ds_write2_b64 v112, v[2:3], v[4:5] offset0:8 offset1:9
	v_add_f32_e32 v2, v26, v6
	v_add_f32_e32 v2, v2, v10
	;; [unrolled: 1-line block ×5, first 2 shown]
	v_sub_f32_e32 v5, v6, v10
	v_sub_f32_e32 v9, v10, v6
	v_add_f32_e32 v21, v6, v18
	v_sub_f32_e32 v6, v6, v18
	v_add_f32_e32 v3, v3, v23
	v_sub_f32_e32 v24, v18, v22
	v_sub_f32_e32 v25, v22, v18
	v_add_f32_e32 v18, v2, v18
	v_add_f32_e32 v2, v0, v28
	;; [unrolled: 1-line block ×3, first 2 shown]
	v_sub_f32_e32 v8, v11, v23
	v_add_f32_e32 v16, v11, v23
	v_sub_f32_e32 v10, v10, v22
	v_sub_f32_e32 v17, v7, v11
	;; [unrolled: 1-line block ×4, first 2 shown]
	v_add_f32_e32 v7, v7, v19
	v_sub_f32_e32 v22, v19, v23
	v_sub_f32_e32 v23, v23, v19
	v_add_f32_e32 v19, v3, v19
	v_add_f32_e32 v2, v2, v32
	;; [unrolled: 1-line block ×6, first 2 shown]
	v_sub_f32_e32 v34, v28, v32
	v_sub_f32_e32 v35, v32, v28
	;; [unrolled: 1-line block ×3, first 2 shown]
	v_add_f32_e32 v43, v28, v36
	v_sub_f32_e32 v28, v28, v36
	v_add_f32_e32 v3, v3, v41
	v_sub_f32_e32 v84, v36, v40
	v_sub_f32_e32 v40, v40, v36
	v_add_f32_e32 v36, v2, v36
	v_add_f32_e32 v2, v12, v52
	;; [unrolled: 1-line block ×3, first 2 shown]
	v_sub_f32_e32 v31, v33, v41
	v_add_f32_e32 v38, v33, v41
	v_sub_f32_e32 v39, v29, v33
	v_sub_f32_e32 v33, v33, v29
	;; [unrolled: 1-line block ×3, first 2 shown]
	v_add_f32_e32 v29, v29, v37
	v_sub_f32_e32 v85, v37, v41
	v_sub_f32_e32 v41, v41, v37
	v_add_f32_e32 v37, v3, v37
	v_add_f32_e32 v2, v2, v56
	;; [unrolled: 1-line block ×8, first 2 shown]
	v_sub_f32_e32 v90, v52, v56
	v_add_f32_e32 v92, v57, v49
	v_add_f32_e32 v2, v2, v48
	;; [unrolled: 1-line block ×3, first 2 shown]
	v_sub_f32_e32 v104, v44, v48
	v_fma_f32 v88, -0.5, v88, v12
	v_add_f32_e32 v108, v100, v106
	v_add_f32_e32 v111, v99, v96
	;; [unrolled: 1-line block ×3, first 2 shown]
	v_sub_f32_e32 v91, v56, v52
	v_sub_f32_e32 v56, v56, v48
	v_add_f32_e32 v94, v58, v50
	v_sub_f32_e32 v96, v54, v58
	v_sub_f32_e32 v97, v58, v54
	v_sub_f32_e32 v58, v58, v50
	v_sub_f32_e32 v100, v53, v45
	v_add_f32_e32 v101, v52, v44
	v_sub_f32_e32 v52, v52, v44
	v_add_f32_e32 v103, v54, v46
	v_sub_f32_e32 v54, v54, v46
	;; [unrolled: 2-line block ×3, first 2 shown]
	v_sub_f32_e32 v106, v46, v50
	v_sub_f32_e32 v50, v50, v46
	v_add_f32_e32 v44, v2, v44
	v_add_f32_e32 v46, v86, v46
	;; [unrolled: 1-line block ×3, first 2 shown]
	v_mov_b32_e32 v2, v88
	v_fma_f32 v90, -0.5, v92, v13
	v_add_f32_e32 v110, v98, v95
	v_sub_f32_e32 v89, v57, v49
	v_sub_f32_e32 v93, v53, v57
	;; [unrolled: 1-line block ×3, first 2 shown]
	v_add_f32_e32 v53, v53, v45
	v_add_f32_e32 v87, v87, v51
	v_sub_f32_e32 v105, v45, v49
	v_sub_f32_e32 v49, v49, v45
	v_add_f32_e32 v45, v3, v45
	v_fmac_f32_e32 v2, 0x3f737871, v100
	v_mov_b32_e32 v3, v90
	v_fma_f32 v104, -0.5, v4, v26
	v_fma_f32 v16, -0.5, v16, v27
	ds_write2_b64 v112, v[108:109], v[110:111] offset1:1
	v_sub_f32_e32 v95, v59, v51
	v_add_f32_e32 v98, v59, v51
	v_sub_f32_e32 v99, v55, v59
	v_sub_f32_e32 v59, v59, v55
	;; [unrolled: 1-line block ×3, first 2 shown]
	v_add_f32_e32 v55, v55, v47
	v_sub_f32_e32 v107, v47, v51
	v_sub_f32_e32 v51, v51, v47
	v_add_f32_e32 v47, v87, v47
	v_add_f32_e32 v87, v93, v105
	v_fmac_f32_e32 v2, 0x3f167918, v89
	v_fmac_f32_e32 v3, 0xbf737871, v52
	v_mov_b32_e32 v105, v104
	v_mov_b32_e32 v108, v16
	v_fmac_f32_e32 v2, 0x3e9e377a, v86
	v_fmac_f32_e32 v3, 0xbf167918, v56
	;; [unrolled: 1-line block ×4, first 2 shown]
	v_add_f32_e32 v24, v5, v24
	v_add_f32_e32 v17, v17, v22
	v_fmac_f32_e32 v3, 0x3e9e377a, v87
	v_mul_f32_e32 v92, 0x3f4f1bbd, v2
	v_mul_f32_e32 v93, 0xbf167918, v2
	v_fmac_f32_e32 v105, 0x3f167918, v8
	v_fmac_f32_e32 v108, 0xbf167918, v10
	;; [unrolled: 1-line block ×6, first 2 shown]
	v_mul_i32_i24_e32 v22, 10, v64
	v_add_f32_e32 v2, v18, v44
	v_add_f32_e32 v3, v19, v45
	;; [unrolled: 1-line block ×4, first 2 shown]
	v_lshl_add_u32 v22, v22, 3, 0
	ds_write2_b64 v22, v[2:3], v[4:5] offset1:1
	v_add_f32_e32 v2, v9, v25
	v_fma_f32 v9, -0.5, v21, v26
	v_mov_b32_e32 v21, v9
	v_fmac_f32_e32 v27, -0.5, v7
	v_fmac_f32_e32 v21, 0xbf737871, v8
	v_fmac_f32_e32 v9, 0x3f737871, v8
	v_mov_b32_e32 v7, v27
	v_fma_f32 v3, -0.5, v101, v12
	v_fmac_f32_e32 v21, 0x3f167918, v20
	v_fmac_f32_e32 v9, 0xbf167918, v20
	;; [unrolled: 1-line block ×4, first 2 shown]
	v_mov_b32_e32 v4, v3
	v_fma_f32 v5, -0.5, v53, v13
	v_fmac_f32_e32 v21, 0x3e9e377a, v2
	v_fmac_f32_e32 v9, 0x3e9e377a, v2
	v_add_f32_e32 v2, v11, v23
	v_fmac_f32_e32 v7, 0xbf167918, v6
	v_fmac_f32_e32 v27, 0x3f167918, v6
	;; [unrolled: 1-line block ×4, first 2 shown]
	v_mov_b32_e32 v11, v5
	v_fmac_f32_e32 v7, 0x3e9e377a, v2
	v_fmac_f32_e32 v27, 0x3e9e377a, v2
	v_add_f32_e32 v2, v91, v48
	v_fmac_f32_e32 v4, 0x3f167918, v100
	v_fmac_f32_e32 v3, 0xbf167918, v100
	;; [unrolled: 1-line block ×6, first 2 shown]
	v_add_f32_e32 v2, v57, v49
	v_fmac_f32_e32 v11, 0xbf167918, v52
	v_fmac_f32_e32 v5, 0x3f167918, v52
	;; [unrolled: 1-line block ×4, first 2 shown]
	v_mul_f32_e32 v13, 0xbf737871, v4
	v_mul_f32_e32 v2, 0x3e9e377a, v3
	;; [unrolled: 1-line block ×3, first 2 shown]
	v_fmac_f32_e32 v13, 0x3e9e377a, v11
	v_fma_f32 v11, v5, s7, -v2
	v_mul_f32_e32 v2, 0x3e9e377a, v5
	v_fmac_f32_e32 v88, 0xbf737871, v100
	v_fmac_f32_e32 v12, 0x3e9e377a, v4
	v_fma_f32 v23, v3, s4, -v2
	v_fmac_f32_e32 v88, 0xbf167918, v89
	v_fmac_f32_e32 v90, 0x3f737871, v52
	v_add_f32_e32 v2, v21, v12
	v_add_f32_e32 v3, v7, v13
	;; [unrolled: 1-line block ×4, first 2 shown]
	v_fmac_f32_e32 v88, 0x3e9e377a, v86
	v_fmac_f32_e32 v90, 0x3f167918, v56
	ds_write2_b64 v22, v[2:3], v[4:5] offset0:2 offset1:3
	v_fmac_f32_e32 v104, 0xbf737871, v20
	v_fmac_f32_e32 v16, 0x3f737871, v6
	;; [unrolled: 1-line block ×3, first 2 shown]
	v_mul_f32_e32 v4, 0x3f4f1bbd, v88
	v_fmac_f32_e32 v104, 0xbf167918, v8
	v_fmac_f32_e32 v16, 0x3f167918, v10
	v_fma_f32 v6, v90, s6, -v4
	v_mul_f32_e32 v4, 0x3f4f1bbd, v90
	v_fmac_f32_e32 v104, 0x3e9e377a, v24
	v_fmac_f32_e32 v16, 0x3e9e377a, v17
	v_fma_f32 v8, v88, s5, -v4
	v_sub_f32_e32 v2, v18, v44
	v_sub_f32_e32 v3, v19, v45
	v_add_f32_e32 v4, v104, v6
	v_add_f32_e32 v5, v16, v8
	ds_write2_b64 v22, v[4:5], v[2:3] offset0:4 offset1:5
	v_sub_f32_e32 v2, v105, v92
	v_sub_f32_e32 v3, v108, v93
	;; [unrolled: 1-line block ×4, first 2 shown]
	ds_write2_b64 v22, v[2:3], v[4:5] offset0:6 offset1:7
	v_sub_f32_e32 v3, v27, v23
	v_sub_f32_e32 v2, v9, v11
	v_sub_f32_e32 v4, v104, v6
	v_sub_f32_e32 v5, v16, v8
	v_fma_f32 v10, -0.5, v94, v14
	ds_write2_b64 v22, v[2:3], v[4:5] offset0:8 offset1:9
	v_mov_b32_e32 v2, v10
	v_fma_f32 v11, -0.5, v98, v15
	v_fmac_f32_e32 v2, 0x3f737871, v102
	v_mov_b32_e32 v3, v11
	v_fma_f32 v16, -0.5, v30, v0
	v_fma_f32 v18, -0.5, v38, v1
	v_add_f32_e32 v8, v96, v106
	v_fmac_f32_e32 v2, 0x3f167918, v95
	v_fmac_f32_e32 v3, 0xbf737871, v54
	v_mov_b32_e32 v17, v16
	v_mov_b32_e32 v19, v18
	v_add_f32_e32 v9, v99, v107
	v_fmac_f32_e32 v2, 0x3e9e377a, v8
	v_fmac_f32_e32 v3, 0xbf167918, v58
	;; [unrolled: 1-line block ×4, first 2 shown]
	v_add_f32_e32 v6, v34, v84
	v_add_f32_e32 v7, v39, v85
	v_fmac_f32_e32 v3, 0x3e9e377a, v9
	v_mul_f32_e32 v12, 0x3f4f1bbd, v2
	v_mul_f32_e32 v13, 0xbf167918, v2
	v_fmac_f32_e32 v17, 0x3f167918, v31
	v_fmac_f32_e32 v19, 0xbf167918, v32
	;; [unrolled: 1-line block ×6, first 2 shown]
	v_mul_i32_i24_e32 v20, 10, v75
	v_add_f32_e32 v2, v36, v46
	v_add_f32_e32 v3, v37, v47
	;; [unrolled: 1-line block ×4, first 2 shown]
	v_lshl_add_u32 v23, v20, 3, 0
	ds_write2_b64 v23, v[2:3], v[4:5] offset1:1
	v_fmac_f32_e32 v15, -0.5, v55
	v_fma_f32 v4, -0.5, v103, v14
	v_fma_f32 v0, -0.5, v43, v0
	v_mov_b32_e32 v5, v4
	v_fmac_f32_e32 v4, 0x3f737871, v95
	v_mov_b32_e32 v14, v15
	v_mov_b32_e32 v24, v0
	v_fmac_f32_e32 v1, -0.5, v29
	v_add_f32_e32 v2, v97, v50
	v_fmac_f32_e32 v4, 0xbf167918, v102
	v_fmac_f32_e32 v15, 0xbf737871, v58
	;; [unrolled: 1-line block ×4, first 2 shown]
	v_mov_b32_e32 v25, v1
	v_fmac_f32_e32 v5, 0xbf737871, v95
	v_fmac_f32_e32 v14, 0x3f737871, v58
	v_add_f32_e32 v3, v59, v51
	v_fmac_f32_e32 v4, 0x3e9e377a, v2
	v_fmac_f32_e32 v15, 0x3f167918, v54
	v_add_f32_e32 v21, v35, v40
	v_fmac_f32_e32 v24, 0x3f167918, v42
	v_fmac_f32_e32 v0, 0xbf167918, v42
	v_fmac_f32_e32 v25, 0x3f737871, v32
	v_fmac_f32_e32 v1, 0xbf737871, v32
	v_fmac_f32_e32 v5, 0x3f167918, v102
	v_fmac_f32_e32 v14, 0xbf167918, v54
	v_fmac_f32_e32 v15, 0x3e9e377a, v3
	v_mul_f32_e32 v20, 0x3e9e377a, v4
	v_fmac_f32_e32 v24, 0x3e9e377a, v21
	v_fmac_f32_e32 v0, 0x3e9e377a, v21
	v_add_f32_e32 v21, v33, v41
	v_fmac_f32_e32 v25, 0xbf167918, v28
	v_fmac_f32_e32 v1, 0x3f167918, v28
	;; [unrolled: 1-line block ×4, first 2 shown]
	v_fma_f32 v20, v15, s7, -v20
	v_mul_f32_e32 v15, 0x3e9e377a, v15
	v_fmac_f32_e32 v25, 0x3e9e377a, v21
	v_fmac_f32_e32 v1, 0x3e9e377a, v21
	v_mul_f32_e32 v21, 0x3f737871, v14
	v_mul_f32_e32 v26, 0xbf737871, v5
	v_fmac_f32_e32 v10, 0xbf737871, v102
	v_fmac_f32_e32 v21, 0x3e9e377a, v5
	;; [unrolled: 1-line block ×3, first 2 shown]
	v_fma_f32 v14, v4, s4, -v15
	v_fmac_f32_e32 v10, 0xbf167918, v95
	v_fmac_f32_e32 v11, 0x3f737871, v54
	v_add_f32_e32 v2, v24, v21
	v_add_f32_e32 v3, v25, v26
	;; [unrolled: 1-line block ×4, first 2 shown]
	v_fmac_f32_e32 v16, 0xbf737871, v42
	v_fmac_f32_e32 v10, 0x3e9e377a, v8
	;; [unrolled: 1-line block ×3, first 2 shown]
	ds_write2_b64 v23, v[2:3], v[4:5] offset0:2 offset1:3
	v_fmac_f32_e32 v16, 0xbf167918, v31
	v_fmac_f32_e32 v18, 0x3f737871, v28
	;; [unrolled: 1-line block ×3, first 2 shown]
	v_mul_f32_e32 v4, 0x3f4f1bbd, v10
	v_fmac_f32_e32 v16, 0x3e9e377a, v6
	v_fmac_f32_e32 v18, 0x3f167918, v32
	v_fma_f32 v6, v11, s6, -v4
	v_mul_f32_e32 v4, 0x3f4f1bbd, v11
	v_fmac_f32_e32 v18, 0x3e9e377a, v7
	v_fma_f32 v7, v10, s5, -v4
	v_sub_f32_e32 v2, v36, v46
	v_sub_f32_e32 v3, v37, v47
	v_add_f32_e32 v4, v16, v6
	v_add_f32_e32 v5, v18, v7
	ds_write2_b64 v23, v[4:5], v[2:3] offset0:4 offset1:5
	v_sub_f32_e32 v2, v17, v12
	v_sub_f32_e32 v3, v19, v13
	;; [unrolled: 1-line block ×4, first 2 shown]
	ds_write2_b64 v23, v[2:3], v[4:5] offset0:6 offset1:7
	v_sub_f32_e32 v1, v1, v14
	v_sub_f32_e32 v0, v0, v20
	v_sub_f32_e32 v2, v16, v6
	v_sub_f32_e32 v3, v18, v7
	s_mov_b32 s4, 0xcccd
	ds_write2_b64 v23, v[0:1], v[2:3] offset0:8 offset1:9
	v_mul_u32_u24_sdwa v0, v64, s4 dst_sel:DWORD dst_unused:UNUSED_PAD src0_sel:WORD_0 src1_sel:DWORD
	v_lshrrev_b32_e32 v35, 19, v0
	v_mul_lo_u16_e32 v0, 10, v35
	v_sub_u16_e32 v36, v64, v0
	v_lshlrev_b32_e32 v4, 5, v36
	v_mul_u32_u24_sdwa v5, v75, s4 dst_sel:DWORD dst_unused:UNUSED_PAD src0_sel:WORD_0 src1_sel:DWORD
	s_waitcnt lgkmcnt(0)
	s_barrier
	global_load_dwordx4 v[0:3], v4, s[8:9]
	v_lshrrev_b32_e32 v33, 19, v5
	v_mul_lo_u16_e32 v5, 10, v33
	v_sub_u16_e32 v34, v75, v5
	v_lshlrev_b32_e32 v5, 5, v34
	global_load_dwordx4 v[6:9], v5, s[8:9]
	global_load_dwordx4 v[10:13], v4, s[8:9] offset:16
	global_load_dwordx4 v[14:17], v5, s[8:9] offset:16
	v_mul_u32_u24_sdwa v4, v74, s4 dst_sel:DWORD dst_unused:UNUSED_PAD src0_sel:WORD_0 src1_sel:DWORD
	v_lshrrev_b32_e32 v27, 19, v4
	v_mul_lo_u16_e32 v4, 10, v27
	v_mul_u32_u24_sdwa v5, v71, s4 dst_sel:DWORD dst_unused:UNUSED_PAD src0_sel:WORD_0 src1_sel:DWORD
	v_sub_u16_e32 v28, v74, v4
	v_lshrrev_b32_e32 v29, 19, v5
	v_lshlrev_b32_e32 v4, 5, v28
	v_mul_lo_u16_e32 v5, 10, v29
	global_load_dwordx4 v[18:21], v4, s[8:9]
	global_load_dwordx4 v[95:98], v4, s[8:9] offset:16
	v_sub_u16_e32 v30, v71, v5
	v_lshlrev_b32_e32 v5, 5, v30
	global_load_dwordx4 v[40:43], v5, s[8:9]
	global_load_dwordx4 v[99:102], v5, s[8:9] offset:16
	v_add_u32_e32 v24, 0x1c00, v77
	ds_read2_b64 v[45:48], v24 offset0:49 offset1:184
	v_add_u32_e32 v4, 0x3400, v77
	ds_read2_b64 v[50:53], v4 offset0:91 offset1:226
	s_movk_i32 s5, 0xcd
	s_add_u32 s6, s8, 0x7e40
	s_addc_u32 s7, s9, 0
	s_waitcnt vmcnt(7) lgkmcnt(1)
	v_mul_f32_e32 v4, v46, v1
	v_mul_f32_e32 v57, v45, v1
	v_fma_f32 v58, v45, v0, -v4
	v_fmac_f32_e32 v57, v46, v0
	s_waitcnt lgkmcnt(0)
	v_mul_f32_e32 v0, v51, v3
	v_fma_f32 v85, v50, v2, -v0
	s_waitcnt vmcnt(6)
	v_mul_f32_e32 v0, v48, v7
	v_fma_f32 v46, v47, v6, -v0
	v_mul_lo_u16_sdwa v0, v60, s5 dst_sel:DWORD dst_unused:UNUSED_PAD src0_sel:BYTE_0 src1_sel:DWORD
	v_lshrrev_b16_e32 v93, 11, v0
	v_mul_lo_u16_e32 v0, 10, v93
	v_sub_u16_e32 v94, v60, v0
	v_mov_b32_e32 v0, 5
	v_mul_f32_e32 v59, v50, v3
	v_lshlrev_b32_sdwa v24, v0, v94 dst_sel:DWORD dst_unused:UNUSED_PAD src0_sel:DWORD src1_sel:BYTE_0
	v_fmac_f32_e32 v59, v51, v2
	global_load_dwordx4 v[0:3], v24, s[8:9]
	v_mul_f32_e32 v4, v53, v9
	v_mul_f32_e32 v45, v47, v7
	v_fma_f32 v51, v52, v8, -v4
	v_add_u32_e32 v4, 0x5000, v77
	v_fmac_f32_e32 v45, v48, v6
	ds_read2_b64 v[47:50], v4 offset0:5 offset1:140
	v_mul_u32_u24_sdwa v4, v73, s4 dst_sel:DWORD dst_unused:UNUSED_PAD src0_sel:WORD_0 src1_sel:DWORD
	v_lshrrev_b32_e32 v31, 19, v4
	v_mul_lo_u16_e32 v4, 10, v31
	v_sub_u16_e32 v32, v73, v4
	v_lshlrev_b32_e32 v25, 5, v32
	global_load_dwordx4 v[4:7], v25, s[8:9]
	v_mul_f32_e32 v54, v52, v9
	v_fmac_f32_e32 v54, v53, v8
	v_add_u32_e32 v8, 0x6800, v77
	ds_read2_b64 v[103:106], v8 offset0:47 offset1:182
	s_waitcnt vmcnt(7) lgkmcnt(1)
	v_mul_f32_e32 v8, v48, v11
	v_mul_f32_e32 v89, v47, v11
	v_fma_f32 v90, v47, v10, -v8
	v_fmac_f32_e32 v89, v48, v10
	global_load_dwordx4 v[8:11], v24, s[8:9] offset:16
	s_waitcnt lgkmcnt(0)
	v_mul_f32_e32 v26, v104, v13
	v_mul_f32_e32 v91, v103, v13
	v_fma_f32 v92, v103, v12, -v26
	v_fmac_f32_e32 v91, v104, v12
	s_waitcnt vmcnt(7)
	v_mul_f32_e32 v12, v50, v15
	v_mul_f32_e32 v84, v49, v15
	v_fma_f32 v86, v49, v14, -v12
	v_fmac_f32_e32 v84, v50, v14
	global_load_dwordx4 v[12:15], v25, s[8:9] offset:16
	v_mul_f32_e32 v24, v106, v17
	v_fma_f32 v88, v105, v16, -v24
	v_add_u32_e32 v24, 0x2400, v77
	v_mul_f32_e32 v87, v105, v17
	ds_read2_b64 v[107:110], v24 offset0:63 offset1:198
	v_fmac_f32_e32 v87, v106, v16
	v_add_u32_e32 v16, 0x3c00, v77
	ds_read2_b64 v[103:106], v16 offset0:105 offset1:240
	v_lshl_add_u32 v24, v69, 3, 0
	s_waitcnt vmcnt(7) lgkmcnt(1)
	v_mul_f32_e32 v16, v108, v19
	v_fma_f32 v49, v107, v18, -v16
	s_waitcnt vmcnt(5)
	v_mul_f32_e32 v37, v109, v41
	s_waitcnt lgkmcnt(0)
	v_mul_f32_e32 v16, v104, v21
	v_fma_f32 v50, v103, v20, -v16
	v_mul_f32_e32 v16, v110, v41
	v_fma_f32 v39, v109, v40, -v16
	v_mul_f32_e32 v16, v106, v43
	v_mul_f32_e32 v47, v107, v19
	;; [unrolled: 1-line block ×3, first 2 shown]
	v_fmac_f32_e32 v37, v110, v40
	v_fma_f32 v40, v105, v42, -v16
	v_add_u32_e32 v16, 0x5800, v77
	v_fmac_f32_e32 v47, v108, v18
	v_fmac_f32_e32 v48, v104, v20
	ds_read2_b64 v[16:19], v16 offset0:19 offset1:154
	v_mul_f32_e32 v38, v105, v43
	v_add_u32_e32 v20, 0x7000, v77
	v_fmac_f32_e32 v38, v106, v42
	ds_read2_b64 v[103:106], v20 offset0:61 offset1:196
	s_waitcnt lgkmcnt(1)
	v_mul_f32_e32 v20, v17, v96
	v_fma_f32 v55, v16, v95, -v20
	v_mul_f32_e32 v52, v16, v96
	s_waitcnt vmcnt(4)
	v_mul_f32_e32 v41, v18, v100
	s_waitcnt lgkmcnt(0)
	v_mul_f32_e32 v16, v104, v98
	v_fma_f32 v56, v103, v97, -v16
	v_mul_f32_e32 v16, v19, v100
	v_fma_f32 v43, v18, v99, -v16
	v_mul_f32_e32 v16, v106, v102
	v_fmac_f32_e32 v52, v17, v95
	v_fmac_f32_e32 v41, v19, v99
	v_fma_f32 v44, v105, v101, -v16
	v_add_u32_e32 v26, 0x2c00, v77
	ds_read_b64 v[20:21], v24
	ds_read2_b64 v[16:19], v26 offset0:77 offset1:212
	v_mul_f32_e32 v42, v105, v102
	v_mul_f32_e32 v53, v103, v98
	v_fmac_f32_e32 v42, v106, v101
	v_lshl_add_u32 v25, v74, 3, 0
	v_fmac_f32_e32 v53, v104, v97
	ds_read_b64 v[95:96], v25
	ds_read_b64 v[97:98], v77 offset:31320
	s_waitcnt vmcnt(3) lgkmcnt(3)
	v_mul_f32_e32 v99, v1, v21
	v_mul_f32_e32 v100, v1, v20
	v_fma_f32 v99, v0, v20, -v99
	v_fmac_f32_e32 v100, v0, v21
	s_waitcnt lgkmcnt(2)
	v_mul_f32_e32 v0, v19, v3
	v_fma_f32 v101, v18, v2, -v0
	v_mul_f32_e32 v102, v18, v3
	v_add_u32_e32 v0, 0x4400, v77
	v_fmac_f32_e32 v102, v19, v2
	ds_read2_b64 v[0:3], v0 offset0:119 offset1:254
	s_movk_i32 s4, 0xffb8
	s_mov_b32 s5, 0x91a3
	s_waitcnt vmcnt(2)
	v_mul_f32_e32 v18, v17, v5
	v_mul_f32_e32 v104, v16, v5
	v_fma_f32 v103, v16, v4, -v18
	v_fmac_f32_e32 v104, v17, v4
	s_waitcnt lgkmcnt(0)
	v_mul_f32_e32 v4, v1, v7
	v_fma_f32 v105, v0, v6, -v4
	v_mul_f32_e32 v106, v0, v7
	v_add_u32_e32 v0, 0x6000, v77
	v_fmac_f32_e32 v106, v1, v6
	ds_read2_b64 v[4:7], v0 offset0:33 offset1:168
	s_waitcnt vmcnt(1)
	v_mul_f32_e32 v0, v3, v9
	v_fma_f32 v107, v2, v8, -v0
	v_mul_f32_e32 v108, v2, v9
	ds_read_b64 v[1:2], v77
	s_waitcnt lgkmcnt(1)
	v_mul_f32_e32 v0, v7, v11
	v_fma_f32 v109, v6, v10, -v0
	v_mul_f32_e32 v110, v6, v11
	v_fmac_f32_e32 v110, v7, v10
	s_waitcnt vmcnt(0)
	v_mul_f32_e32 v0, v5, v13
	v_fma_f32 v7, v4, v12, -v0
	v_mul_f32_e32 v0, v98, v15
	v_fmac_f32_e32 v108, v3, v8
	v_fma_f32 v112, v97, v14, -v0
	v_mul_f32_e32 v97, v97, v15
	v_sub_f32_e32 v0, v99, v101
	v_sub_f32_e32 v3, v109, v107
	v_fmac_f32_e32 v97, v98, v14
	v_add_f32_e32 v98, v0, v3
	s_waitcnt lgkmcnt(0)
	v_add_f32_e32 v0, v1, v99
	v_add_f32_e32 v0, v0, v101
	;; [unrolled: 1-line block ×5, first 2 shown]
	v_mul_f32_e32 v111, v4, v13
	v_add_f32_e32 v4, v3, v108
	v_add_f32_e32 v3, v0, v109
	;; [unrolled: 1-line block ×3, first 2 shown]
	v_fmac_f32_e32 v111, v5, v12
	v_fma_f32 v5, -0.5, v0, v1
	v_add_f32_e32 v0, v102, v108
	v_fma_f32 v6, -0.5, v0, v2
	v_sub_f32_e32 v0, v100, v102
	v_sub_f32_e32 v8, v110, v108
	v_add_f32_e32 v113, v0, v8
	v_mov_b32_e32 v0, 3
	v_lshlrev_b32_sdwa v9, v0, v94 dst_sel:DWORD dst_unused:UNUSED_PAD src0_sel:DWORD src1_sel:BYTE_0
	v_sub_f32_e32 v94, v100, v110
	v_mov_b32_e32 v12, v5
	v_mov_b32_e32 v13, v6
	v_sub_f32_e32 v115, v99, v109
	v_fmac_f32_e32 v12, 0x3f737871, v94
	v_sub_f32_e32 v114, v102, v108
	v_fmac_f32_e32 v13, 0xbf737871, v115
	v_sub_f32_e32 v116, v101, v107
	v_mul_u32_u24_e32 v8, 0x190, v93
	v_fmac_f32_e32 v12, 0x3f167918, v114
	v_fmac_f32_e32 v13, 0xbf167918, v116
	v_add_f32_e32 v4, v4, v110
	v_add3_u32 v93, 0, v8, v9
	v_fmac_f32_e32 v12, 0x3e9e377a, v98
	v_fmac_f32_e32 v13, 0x3e9e377a, v113
	v_lshl_add_u32 v9, v71, 3, 0
	v_mad_i32_i24 v11, v64, s4, v22
	v_mad_i32_i24 v10, v75, s4, v23
	v_lshl_add_u32 v8, v73, 3, 0
	ds_read_b64 v[14:15], v9
	ds_read_b64 v[16:17], v10
	ds_read_b64 v[18:19], v11
	ds_read_b64 v[20:21], v8
	s_waitcnt lgkmcnt(0)
	s_barrier
	ds_write2_b64 v93, v[3:4], v[12:13] offset1:10
	v_add_f32_e32 v3, v99, v109
	v_fma_f32 v1, -0.5, v3, v1
	v_sub_f32_e32 v3, v101, v99
	v_sub_f32_e32 v4, v107, v109
	v_add_f32_e32 v4, v3, v4
	v_mov_b32_e32 v3, v1
	v_fmac_f32_e32 v3, 0xbf737871, v114
	v_fmac_f32_e32 v1, 0x3f737871, v114
	;; [unrolled: 1-line block ×6, first 2 shown]
	v_add_f32_e32 v4, v100, v110
	v_fmac_f32_e32 v2, -0.5, v4
	v_sub_f32_e32 v4, v102, v100
	v_sub_f32_e32 v12, v108, v110
	v_add_f32_e32 v12, v4, v12
	v_mov_b32_e32 v4, v2
	v_fmac_f32_e32 v4, 0x3f737871, v116
	v_fmac_f32_e32 v2, 0xbf737871, v116
	;; [unrolled: 1-line block ×12, first 2 shown]
	ds_write2_b64 v93, v[3:4], v[1:2] offset0:20 offset1:30
	ds_write_b64 v93, v[5:6] offset:320
	v_add_f32_e32 v3, v85, v90
	v_add_f32_e32 v4, v59, v89
	v_sub_f32_e32 v5, v57, v59
	v_sub_f32_e32 v6, v91, v89
	;; [unrolled: 1-line block ×4, first 2 shown]
	v_fma_f32 v3, -0.5, v3, v18
	v_fma_f32 v4, -0.5, v4, v19
	v_add_f32_e32 v13, v5, v6
	v_mul_u32_u24_e32 v5, 0x190, v35
	v_lshlrev_b32_e32 v6, 3, v36
	v_add_f32_e32 v12, v1, v2
	v_add_f32_e32 v1, v18, v58
	;; [unrolled: 1-line block ×3, first 2 shown]
	v_add3_u32 v35, 0, v5, v6
	v_sub_f32_e32 v36, v57, v91
	v_mov_b32_e32 v5, v3
	v_mov_b32_e32 v6, v4
	v_sub_f32_e32 v94, v58, v92
	v_add_f32_e32 v1, v1, v85
	v_add_f32_e32 v2, v2, v59
	v_fmac_f32_e32 v5, 0x3f737871, v36
	v_sub_f32_e32 v93, v59, v89
	v_fmac_f32_e32 v6, 0xbf737871, v94
	v_sub_f32_e32 v98, v85, v90
	v_add_f32_e32 v1, v1, v90
	v_add_f32_e32 v2, v2, v89
	v_fmac_f32_e32 v5, 0x3f167918, v93
	v_fmac_f32_e32 v6, 0xbf167918, v98
	v_add_f32_e32 v1, v1, v92
	v_add_f32_e32 v2, v2, v91
	v_fmac_f32_e32 v5, 0x3e9e377a, v12
	v_fmac_f32_e32 v6, 0x3e9e377a, v13
	ds_write2_b64 v35, v[1:2], v[5:6] offset1:10
	v_add_f32_e32 v1, v58, v92
	v_fma_f32 v18, -0.5, v1, v18
	v_sub_f32_e32 v1, v85, v58
	v_sub_f32_e32 v2, v90, v92
	v_add_f32_e32 v2, v1, v2
	v_mov_b32_e32 v1, v18
	v_fmac_f32_e32 v1, 0xbf737871, v93
	v_fmac_f32_e32 v18, 0x3f737871, v93
	;; [unrolled: 1-line block ×6, first 2 shown]
	v_add_f32_e32 v2, v57, v91
	v_fmac_f32_e32 v19, -0.5, v2
	v_sub_f32_e32 v2, v59, v57
	v_sub_f32_e32 v5, v89, v91
	v_add_f32_e32 v5, v2, v5
	v_mov_b32_e32 v2, v19
	v_fmac_f32_e32 v3, 0xbf737871, v36
	v_fmac_f32_e32 v4, 0x3f737871, v94
	;; [unrolled: 1-line block ×12, first 2 shown]
	ds_write_b64 v35, v[3:4] offset:320
	v_add_f32_e32 v3, v51, v86
	v_add_f32_e32 v4, v54, v84
	v_sub_f32_e32 v5, v45, v54
	v_sub_f32_e32 v6, v87, v84
	ds_write2_b64 v35, v[1:2], v[18:19] offset0:20 offset1:30
	v_sub_f32_e32 v1, v46, v51
	v_sub_f32_e32 v2, v88, v86
	v_fma_f32 v3, -0.5, v3, v16
	v_fma_f32 v4, -0.5, v4, v17
	v_add_f32_e32 v13, v5, v6
	v_mul_u32_u24_e32 v5, 0x190, v33
	v_lshlrev_b32_e32 v6, 3, v34
	v_add_f32_e32 v12, v1, v2
	v_add_f32_e32 v1, v16, v46
	;; [unrolled: 1-line block ×3, first 2 shown]
	v_add3_u32 v18, 0, v5, v6
	v_sub_f32_e32 v19, v45, v87
	v_mov_b32_e32 v5, v3
	v_mov_b32_e32 v6, v4
	v_sub_f32_e32 v34, v46, v88
	v_add_f32_e32 v1, v1, v51
	v_add_f32_e32 v2, v2, v54
	v_fmac_f32_e32 v5, 0x3f737871, v19
	v_sub_f32_e32 v33, v54, v84
	v_fmac_f32_e32 v6, 0xbf737871, v34
	v_sub_f32_e32 v35, v51, v86
	v_add_f32_e32 v1, v1, v86
	v_add_f32_e32 v2, v2, v84
	v_fmac_f32_e32 v5, 0x3f167918, v33
	v_fmac_f32_e32 v6, 0xbf167918, v35
	v_add_f32_e32 v1, v1, v88
	v_add_f32_e32 v2, v2, v87
	v_fmac_f32_e32 v5, 0x3e9e377a, v12
	v_fmac_f32_e32 v6, 0x3e9e377a, v13
	ds_write2_b64 v18, v[1:2], v[5:6] offset1:10
	v_add_f32_e32 v1, v46, v88
	v_fma_f32 v16, -0.5, v1, v16
	v_sub_f32_e32 v1, v51, v46
	v_sub_f32_e32 v2, v86, v88
	v_add_f32_e32 v2, v1, v2
	v_mov_b32_e32 v1, v16
	v_fmac_f32_e32 v1, 0xbf737871, v33
	v_fmac_f32_e32 v16, 0x3f737871, v33
	v_fmac_f32_e32 v1, 0x3f167918, v19
	v_fmac_f32_e32 v16, 0xbf167918, v19
	v_fmac_f32_e32 v1, 0x3e9e377a, v2
	v_fmac_f32_e32 v16, 0x3e9e377a, v2
	v_add_f32_e32 v2, v45, v87
	v_fmac_f32_e32 v17, -0.5, v2
	v_sub_f32_e32 v2, v54, v45
	v_sub_f32_e32 v5, v84, v87
	v_add_f32_e32 v5, v2, v5
	v_mov_b32_e32 v2, v17
	v_fmac_f32_e32 v3, 0xbf737871, v19
	v_fmac_f32_e32 v4, 0x3f737871, v34
	;; [unrolled: 1-line block ×12, first 2 shown]
	ds_write_b64 v18, v[3:4] offset:320
	v_add_f32_e32 v3, v50, v55
	v_add_f32_e32 v4, v48, v52
	v_sub_f32_e32 v5, v47, v48
	v_sub_f32_e32 v6, v53, v52
	ds_write2_b64 v18, v[1:2], v[16:17] offset0:20 offset1:30
	v_sub_f32_e32 v1, v49, v50
	v_sub_f32_e32 v2, v56, v55
	v_fma_f32 v3, -0.5, v3, v95
	v_fma_f32 v4, -0.5, v4, v96
	v_add_f32_e32 v13, v5, v6
	v_mul_u32_u24_e32 v5, 0x190, v27
	v_lshlrev_b32_e32 v6, 3, v28
	v_add_f32_e32 v12, v1, v2
	v_add_f32_e32 v1, v95, v49
	;; [unrolled: 1-line block ×3, first 2 shown]
	v_add3_u32 v16, 0, v5, v6
	v_sub_f32_e32 v17, v47, v53
	v_mov_b32_e32 v5, v3
	v_mov_b32_e32 v6, v4
	v_sub_f32_e32 v19, v49, v56
	v_add_f32_e32 v1, v1, v50
	v_add_f32_e32 v2, v2, v48
	v_fmac_f32_e32 v5, 0x3f737871, v17
	v_sub_f32_e32 v18, v48, v52
	v_fmac_f32_e32 v6, 0xbf737871, v19
	v_sub_f32_e32 v27, v50, v55
	v_add_f32_e32 v1, v1, v55
	v_add_f32_e32 v2, v2, v52
	v_fmac_f32_e32 v5, 0x3f167918, v18
	v_fmac_f32_e32 v6, 0xbf167918, v27
	v_add_f32_e32 v1, v1, v56
	v_add_f32_e32 v2, v2, v53
	v_fmac_f32_e32 v5, 0x3e9e377a, v12
	v_fmac_f32_e32 v6, 0x3e9e377a, v13
	ds_write2_b64 v16, v[1:2], v[5:6] offset1:10
	v_add_f32_e32 v1, v49, v56
	v_fma_f32 v95, -0.5, v1, v95
	v_sub_f32_e32 v1, v50, v49
	v_sub_f32_e32 v2, v55, v56
	v_add_f32_e32 v2, v1, v2
	v_mov_b32_e32 v1, v95
	v_fmac_f32_e32 v1, 0xbf737871, v18
	v_fmac_f32_e32 v95, 0x3f737871, v18
	v_fmac_f32_e32 v1, 0x3f167918, v17
	v_fmac_f32_e32 v95, 0xbf167918, v17
	v_fmac_f32_e32 v1, 0x3e9e377a, v2
	v_fmac_f32_e32 v95, 0x3e9e377a, v2
	v_add_f32_e32 v2, v47, v53
	v_fmac_f32_e32 v96, -0.5, v2
	v_sub_f32_e32 v2, v48, v47
	v_sub_f32_e32 v5, v52, v53
	v_add_f32_e32 v5, v2, v5
	v_mov_b32_e32 v2, v96
	v_fmac_f32_e32 v3, 0xbf737871, v17
	v_fmac_f32_e32 v4, 0x3f737871, v19
	;; [unrolled: 1-line block ×12, first 2 shown]
	ds_write_b64 v16, v[3:4] offset:320
	v_add_f32_e32 v3, v40, v43
	v_add_f32_e32 v4, v38, v41
	v_sub_f32_e32 v5, v37, v38
	v_sub_f32_e32 v6, v42, v41
	ds_write2_b64 v16, v[1:2], v[95:96] offset0:20 offset1:30
	v_sub_f32_e32 v1, v39, v40
	v_sub_f32_e32 v2, v44, v43
	v_fma_f32 v3, -0.5, v3, v14
	v_fma_f32 v4, -0.5, v4, v15
	v_add_f32_e32 v13, v5, v6
	v_mul_u32_u24_e32 v5, 0x190, v29
	v_lshlrev_b32_e32 v6, 3, v30
	v_add_f32_e32 v12, v1, v2
	v_add_f32_e32 v1, v14, v39
	;; [unrolled: 1-line block ×3, first 2 shown]
	v_add3_u32 v16, 0, v5, v6
	v_sub_f32_e32 v17, v37, v42
	v_mov_b32_e32 v5, v3
	v_mov_b32_e32 v6, v4
	v_sub_f32_e32 v19, v39, v44
	v_add_f32_e32 v1, v1, v40
	v_add_f32_e32 v2, v2, v38
	v_fmac_f32_e32 v5, 0x3f737871, v17
	v_sub_f32_e32 v18, v38, v41
	v_fmac_f32_e32 v6, 0xbf737871, v19
	v_sub_f32_e32 v27, v40, v43
	v_add_f32_e32 v1, v1, v43
	v_add_f32_e32 v2, v2, v41
	v_fmac_f32_e32 v5, 0x3f167918, v18
	v_fmac_f32_e32 v6, 0xbf167918, v27
	v_add_f32_e32 v1, v1, v44
	v_add_f32_e32 v2, v2, v42
	v_fmac_f32_e32 v5, 0x3e9e377a, v12
	v_fmac_f32_e32 v6, 0x3e9e377a, v13
	ds_write2_b64 v16, v[1:2], v[5:6] offset1:10
	v_add_f32_e32 v1, v39, v44
	v_fma_f32 v14, -0.5, v1, v14
	v_sub_f32_e32 v1, v40, v39
	v_sub_f32_e32 v2, v43, v44
	v_add_f32_e32 v2, v1, v2
	v_mov_b32_e32 v1, v14
	v_fmac_f32_e32 v1, 0xbf737871, v18
	v_fmac_f32_e32 v14, 0x3f737871, v18
	;; [unrolled: 1-line block ×6, first 2 shown]
	v_add_f32_e32 v2, v37, v42
	v_fmac_f32_e32 v15, -0.5, v2
	v_sub_f32_e32 v2, v38, v37
	v_sub_f32_e32 v5, v41, v42
	v_add_f32_e32 v5, v2, v5
	v_mov_b32_e32 v2, v15
	v_fmac_f32_e32 v3, 0xbf737871, v17
	v_fmac_f32_e32 v4, 0x3f737871, v19
	;; [unrolled: 1-line block ×12, first 2 shown]
	ds_write_b64 v16, v[3:4] offset:320
	v_add_f32_e32 v3, v105, v7
	v_add_f32_e32 v4, v106, v111
	v_sub_f32_e32 v5, v104, v106
	v_sub_f32_e32 v6, v97, v111
	ds_write2_b64 v16, v[1:2], v[14:15] offset0:20 offset1:30
	v_sub_f32_e32 v1, v103, v105
	v_sub_f32_e32 v2, v112, v7
	v_fma_f32 v3, -0.5, v3, v20
	v_fma_f32 v4, -0.5, v4, v21
	v_add_f32_e32 v13, v5, v6
	v_mul_u32_u24_e32 v5, 0x190, v31
	v_lshlrev_b32_e32 v6, 3, v32
	v_add_f32_e32 v12, v1, v2
	v_add_f32_e32 v1, v20, v103
	;; [unrolled: 1-line block ×3, first 2 shown]
	v_add3_u32 v14, 0, v5, v6
	v_sub_f32_e32 v15, v104, v97
	v_mov_b32_e32 v5, v3
	v_mov_b32_e32 v6, v4
	v_sub_f32_e32 v17, v103, v112
	v_add_f32_e32 v1, v1, v105
	v_add_f32_e32 v2, v2, v106
	v_fmac_f32_e32 v5, 0x3f737871, v15
	v_sub_f32_e32 v16, v106, v111
	v_fmac_f32_e32 v6, 0xbf737871, v17
	v_sub_f32_e32 v18, v105, v7
	v_add_f32_e32 v1, v1, v7
	v_add_f32_e32 v2, v2, v111
	v_fmac_f32_e32 v5, 0x3f167918, v16
	v_fmac_f32_e32 v6, 0xbf167918, v18
	v_add_f32_e32 v1, v1, v112
	v_add_f32_e32 v2, v2, v97
	v_fmac_f32_e32 v5, 0x3e9e377a, v12
	v_fmac_f32_e32 v6, 0x3e9e377a, v13
	ds_write2_b64 v14, v[1:2], v[5:6] offset1:10
	v_add_f32_e32 v1, v103, v112
	v_fma_f32 v20, -0.5, v1, v20
	v_sub_f32_e32 v1, v105, v103
	v_sub_f32_e32 v2, v7, v112
	v_add_f32_e32 v2, v1, v2
	v_mov_b32_e32 v1, v20
	v_fmac_f32_e32 v1, 0xbf737871, v16
	v_fmac_f32_e32 v20, 0x3f737871, v16
	;; [unrolled: 1-line block ×6, first 2 shown]
	v_add_f32_e32 v2, v104, v97
	v_fmac_f32_e32 v21, -0.5, v2
	v_sub_f32_e32 v2, v106, v104
	v_sub_f32_e32 v5, v111, v97
	v_add_f32_e32 v5, v2, v5
	v_mov_b32_e32 v2, v21
	v_fmac_f32_e32 v2, 0x3f737871, v18
	v_fmac_f32_e32 v21, 0xbf737871, v18
	;; [unrolled: 1-line block ×6, first 2 shown]
	ds_write2_b64 v14, v[1:2], v[20:21] offset0:20 offset1:30
	v_fmac_f32_e32 v3, 0xbf737871, v15
	v_mov_b32_e32 v1, 41
	v_fmac_f32_e32 v3, 0xbf167918, v16
	v_mul_lo_u16_sdwa v1, v60, v1 dst_sel:DWORD dst_unused:UNUSED_PAD src0_sel:BYTE_0 src1_sel:DWORD
	v_fmac_f32_e32 v3, 0x3e9e377a, v12
	v_fmac_f32_e32 v4, 0x3f737871, v17
	v_lshrrev_b16_e32 v12, 11, v1
	v_fmac_f32_e32 v4, 0x3f167918, v18
	v_mul_lo_u16_e32 v1, 50, v12
	v_fmac_f32_e32 v4, 0x3e9e377a, v13
	v_sub_u16_e32 v13, v60, v1
	v_mov_b32_e32 v1, 4
	v_lshlrev_b32_sdwa v1, v1, v13 dst_sel:DWORD dst_unused:UNUSED_PAD src0_sel:DWORD src1_sel:BYTE_0
	ds_write_b64 v14, v[3:4] offset:320
	s_waitcnt lgkmcnt(0)
	s_barrier
	global_load_dwordx4 v[39:42], v1, s[8:9] offset:320
	v_lshrrev_b16_e32 v1, 1, v64
	v_mul_u32_u24_e32 v1, 0x147b, v1
	v_lshrrev_b32_e32 v16, 17, v1
	v_mul_lo_u16_e32 v1, 50, v16
	v_sub_u16_e32 v18, v64, v1
	v_lshlrev_b32_e32 v1, 4, v18
	global_load_dwordx4 v[43:46], v1, s[8:9] offset:320
	v_lshrrev_b16_e32 v1, 1, v75
	v_mul_u32_u24_e32 v2, 0x147b, v1
	v_lshrrev_b32_e32 v17, 17, v2
	v_mul_lo_u16_e32 v2, 50, v17
	v_sub_u16_e32 v19, v75, v2
	v_lshlrev_b32_e32 v2, 4, v19
	;; [unrolled: 7-line block ×7, first 2 shown]
	global_load_dwordx4 v[92:95], v7, s[8:9] offset:320
	v_lshrrev_b16_e32 v7, 1, v67
	v_mul_u32_u24_e32 v14, 0x147b, v7
	v_lshrrev_b32_e32 v28, 17, v14
	v_lshrrev_b16_e32 v15, 1, v66
	v_mul_lo_u16_e32 v14, 50, v28
	v_mul_u32_u24_e32 v36, 0x147b, v15
	v_sub_u16_e32 v30, v67, v14
	v_lshrrev_b32_e32 v36, 17, v36
	v_lshlrev_b32_e32 v14, 4, v30
	v_mul_lo_u16_e32 v38, 50, v36
	ds_read2_b64 v[96:99], v83 offset0:70 offset1:205
	ds_read2_b64 v[100:103], v76 offset0:12 offset1:147
	global_load_dwordx4 v[104:107], v14, s[8:9] offset:320
	v_sub_u16_e32 v38, v66, v38
	v_lshlrev_b32_e32 v59, 4, v38
	global_load_dwordx4 v[108:111], v59, s[8:9] offset:320
	v_lshlrev_b32_sdwa v0, v0, v13 dst_sel:DWORD dst_unused:UNUSED_PAD src0_sel:DWORD src1_sel:BYTE_0
	v_mul_u32_u24_e32 v12, 0x4b0, v12
	v_add3_u32 v0, 0, v12, v0
	v_lshl_add_u32 v13, v67, 3, 0
	v_lshl_add_u32 v12, v66, 3, 0
	v_mul_u32_u24_e32 v16, 0x4b0, v16
	v_lshlrev_b32_e32 v18, 3, v18
	v_add3_u32 v16, 0, v16, v18
	s_movk_i32 s4, 0x1c2
	s_waitcnt vmcnt(9) lgkmcnt(1)
	v_mul_f32_e32 v14, v40, v97
	v_mul_f32_e32 v59, v40, v96
	v_fma_f32 v14, v39, v96, -v14
	v_fmac_f32_e32 v59, v39, v97
	s_waitcnt lgkmcnt(0)
	v_mul_f32_e32 v39, v42, v101
	v_fma_f32 v83, v41, v100, -v39
	v_mul_f32_e32 v96, v42, v100
	s_waitcnt vmcnt(8)
	v_mul_f32_e32 v39, v99, v44
	v_fma_f32 v97, v98, v43, -v39
	v_mul_f32_e32 v98, v98, v44
	v_fmac_f32_e32 v96, v41, v101
	v_fmac_f32_e32 v98, v99, v43
	v_mul_f32_e32 v43, v103, v46
	ds_read2_b64 v[39:42], v72 offset0:84 offset1:219
	v_mul_f32_e32 v100, v102, v46
	v_fma_f32 v99, v102, v45, -v43
	v_fmac_f32_e32 v100, v103, v45
	ds_read2_b64 v[43:46], v82 offset0:26 offset1:161
	s_waitcnt vmcnt(7) lgkmcnt(1)
	v_mul_f32_e32 v101, v40, v48
	v_fma_f32 v101, v39, v47, -v101
	v_mul_f32_e32 v102, v39, v48
	s_waitcnt vmcnt(6)
	v_mul_f32_e32 v114, v41, v52
	s_waitcnt lgkmcnt(0)
	v_mul_f32_e32 v39, v44, v50
	v_fma_f32 v103, v43, v49, -v39
	v_mul_f32_e32 v39, v42, v52
	v_fmac_f32_e32 v102, v40, v47
	v_mul_f32_e32 v112, v43, v50
	v_fma_f32 v113, v41, v51, -v39
	v_fmac_f32_e32 v114, v42, v51
	v_mul_f32_e32 v43, v46, v54
	ds_read2_b64 v[39:42], v79 offset0:98 offset1:233
	v_mul_f32_e32 v116, v45, v54
	v_fmac_f32_e32 v112, v44, v49
	v_fma_f32 v115, v45, v53, -v43
	v_fmac_f32_e32 v116, v46, v53
	ds_read2_b64 v[43:46], v70 offset0:40 offset1:175
	s_waitcnt vmcnt(5) lgkmcnt(1)
	v_mul_f32_e32 v47, v40, v56
	v_fma_f32 v117, v39, v55, -v47
	v_mul_f32_e32 v118, v39, v56
	s_waitcnt vmcnt(4)
	v_mul_f32_e32 v122, v41, v85
	s_waitcnt lgkmcnt(0)
	v_mul_f32_e32 v39, v44, v58
	v_fma_f32 v119, v43, v57, -v39
	v_mul_f32_e32 v39, v42, v85
	v_fmac_f32_e32 v118, v40, v55
	v_mul_f32_e32 v120, v43, v58
	v_fma_f32 v121, v41, v84, -v39
	v_fmac_f32_e32 v122, v42, v84
	v_mul_f32_e32 v43, v46, v87
	ds_read2_b64 v[39:42], v81 offset0:112 offset1:247
	v_mul_f32_e32 v87, v45, v87
	v_fmac_f32_e32 v120, v44, v57
	v_fma_f32 v123, v45, v86, -v43
	v_fmac_f32_e32 v87, v46, v86
	ds_read2_b64 v[43:46], v78 offset0:54 offset1:189
	s_waitcnt vmcnt(3) lgkmcnt(1)
	v_mul_f32_e32 v47, v40, v89
	v_fma_f32 v124, v39, v88, -v47
	v_mul_f32_e32 v89, v39, v89
	v_fmac_f32_e32 v89, v40, v88
	s_waitcnt lgkmcnt(0)
	v_mul_f32_e32 v39, v44, v91
	v_fma_f32 v88, v43, v90, -v39
	v_mul_f32_e32 v91, v43, v91
	s_waitcnt vmcnt(2)
	v_mul_f32_e32 v39, v42, v93
	v_mul_f32_e32 v93, v41, v93
	v_fmac_f32_e32 v91, v44, v90
	v_fma_f32 v90, v41, v92, -v39
	v_fmac_f32_e32 v93, v42, v92
	v_mul_f32_e32 v43, v46, v95
	ds_read2_b64 v[39:42], v65 offset0:62 offset1:197
	v_mul_f32_e32 v95, v45, v95
	v_fma_f32 v92, v45, v94, -v43
	v_fmac_f32_e32 v95, v46, v94
	ds_read2_b64 v[43:46], v80 offset0:68 offset1:203
	s_waitcnt vmcnt(1) lgkmcnt(1)
	v_mul_f32_e32 v47, v40, v105
	v_fma_f32 v94, v39, v104, -v47
	v_mul_f32_e32 v105, v39, v105
	v_fmac_f32_e32 v105, v40, v104
	s_waitcnt lgkmcnt(0)
	v_mul_f32_e32 v39, v44, v107
	v_fma_f32 v104, v43, v106, -v39
	v_mul_f32_e32 v107, v43, v107
	s_waitcnt vmcnt(0)
	v_mul_f32_e32 v39, v42, v109
	v_fmac_f32_e32 v107, v44, v106
	v_fma_f32 v106, v41, v108, -v39
	v_mul_f32_e32 v109, v41, v109
	v_mul_f32_e32 v39, v46, v111
	v_fmac_f32_e32 v109, v42, v108
	v_fma_f32 v108, v45, v110, -v39
	ds_read_b64 v[39:40], v77
	v_add_f32_e32 v48, v14, v83
	v_add_f32_e32 v49, v59, v96
	v_mul_f32_e32 v111, v45, v111
	v_fmac_f32_e32 v111, v46, v110
	s_waitcnt lgkmcnt(0)
	v_add_f32_e32 v47, v39, v14
	v_fma_f32 v39, -0.5, v48, v39
	v_add_f32_e32 v48, v40, v59
	v_fmac_f32_e32 v40, -0.5, v49
	v_sub_f32_e32 v110, v59, v96
	v_sub_f32_e32 v59, v14, v83
	v_mov_b32_e32 v49, v39
	v_mov_b32_e32 v50, v40
	v_add_f32_e32 v47, v47, v83
	v_add_f32_e32 v48, v48, v96
	v_fmac_f32_e32 v49, 0x3f5db3d7, v110
	v_fmac_f32_e32 v50, 0xbf5db3d7, v59
	;; [unrolled: 1-line block ×4, first 2 shown]
	ds_read_b64 v[41:42], v24
	ds_read_b64 v[43:44], v9
	;; [unrolled: 1-line block ×3, first 2 shown]
	v_lshl_add_u32 v14, v68, 3, 0
	ds_read_b64 v[51:52], v11
	ds_read_b64 v[53:54], v10
	;; [unrolled: 1-line block ×6, first 2 shown]
	s_waitcnt lgkmcnt(0)
	s_barrier
	ds_write2_b64 v0, v[47:48], v[49:50] offset1:50
	ds_write_b64 v0, v[39:40] offset:800
	v_add_f32_e32 v0, v51, v97
	v_add_f32_e32 v39, v97, v99
	;; [unrolled: 1-line block ×3, first 2 shown]
	v_fma_f32 v51, -0.5, v39, v51
	v_add_f32_e32 v39, v0, v99
	v_add_f32_e32 v0, v52, v98
	v_fmac_f32_e32 v52, -0.5, v47
	v_add_f32_e32 v40, v0, v100
	v_sub_f32_e32 v0, v98, v100
	v_sub_f32_e32 v49, v97, v99
	v_mov_b32_e32 v47, v51
	v_mov_b32_e32 v48, v52
	v_fmac_f32_e32 v47, 0x3f5db3d7, v0
	v_fmac_f32_e32 v48, 0xbf5db3d7, v49
	;; [unrolled: 1-line block ×4, first 2 shown]
	ds_write2_b64 v16, v[39:40], v[47:48] offset1:50
	ds_write_b64 v16, v[51:52] offset:800
	v_add_f32_e32 v16, v101, v103
	v_add_f32_e32 v0, v53, v101
	v_fma_f32 v53, -0.5, v16, v53
	v_add_f32_e32 v16, v102, v112
	v_add_f32_e32 v39, v0, v103
	;; [unrolled: 1-line block ×3, first 2 shown]
	v_fmac_f32_e32 v54, -0.5, v16
	v_mul_u32_u24_e32 v16, 0x4b0, v17
	v_lshlrev_b32_e32 v17, 3, v19
	v_add_f32_e32 v40, v0, v112
	v_sub_f32_e32 v0, v102, v112
	v_sub_f32_e32 v18, v101, v103
	v_add3_u32 v19, 0, v16, v17
	v_mov_b32_e32 v16, v53
	v_mov_b32_e32 v17, v54
	v_fmac_f32_e32 v16, 0x3f5db3d7, v0
	v_fmac_f32_e32 v17, 0xbf5db3d7, v18
	ds_write2_b64 v19, v[39:40], v[16:17] offset1:50
	v_fmac_f32_e32 v53, 0xbf5db3d7, v0
	v_fmac_f32_e32 v54, 0x3f5db3d7, v18
	v_add_f32_e32 v0, v45, v113
	v_add_f32_e32 v16, v113, v115
	;; [unrolled: 1-line block ×3, first 2 shown]
	ds_write_b64 v19, v[53:54] offset:800
	v_fma_f32 v45, -0.5, v16, v45
	v_add_f32_e32 v16, v0, v115
	v_add_f32_e32 v0, v46, v114
	v_fmac_f32_e32 v46, -0.5, v18
	v_mul_u32_u24_e32 v18, 0x4b0, v34
	v_lshlrev_b32_e32 v19, 3, v37
	v_add_f32_e32 v17, v0, v116
	v_sub_f32_e32 v0, v114, v116
	v_sub_f32_e32 v39, v113, v115
	v_add3_u32 v34, 0, v18, v19
	v_mov_b32_e32 v18, v45
	v_mov_b32_e32 v19, v46
	v_fmac_f32_e32 v18, 0x3f5db3d7, v0
	v_fmac_f32_e32 v19, 0xbf5db3d7, v39
	ds_write2_b64 v34, v[16:17], v[18:19] offset1:50
	v_fmac_f32_e32 v45, 0xbf5db3d7, v0
	v_add_f32_e32 v0, v43, v117
	v_add_f32_e32 v16, v117, v119
	;; [unrolled: 1-line block ×3, first 2 shown]
	v_fmac_f32_e32 v46, 0x3f5db3d7, v39
	v_fma_f32 v43, -0.5, v16, v43
	v_add_f32_e32 v16, v0, v119
	v_add_f32_e32 v0, v44, v118
	v_fmac_f32_e32 v44, -0.5, v18
	v_mul_u32_u24_e32 v18, 0x4b0, v21
	v_lshlrev_b32_e32 v19, 3, v29
	ds_write_b64 v34, v[45:46] offset:800
	v_add_f32_e32 v17, v0, v120
	v_sub_f32_e32 v0, v118, v120
	v_sub_f32_e32 v34, v117, v119
	v_add3_u32 v21, 0, v18, v19
	v_mov_b32_e32 v18, v43
	v_mov_b32_e32 v19, v44
	v_fmac_f32_e32 v18, 0x3f5db3d7, v0
	v_fmac_f32_e32 v19, 0xbf5db3d7, v34
	ds_write2_b64 v21, v[16:17], v[18:19] offset1:50
	v_fmac_f32_e32 v43, 0xbf5db3d7, v0
	v_add_f32_e32 v0, v55, v121
	v_add_f32_e32 v16, v121, v123
	v_add_f32_e32 v18, v122, v87
	v_fmac_f32_e32 v44, 0x3f5db3d7, v34
	v_fma_f32 v55, -0.5, v16, v55
	v_add_f32_e32 v16, v0, v123
	v_add_f32_e32 v0, v56, v122
	v_fmac_f32_e32 v56, -0.5, v18
	v_mul_u32_u24_e32 v18, 0x4b0, v32
	v_lshlrev_b32_e32 v19, 3, v35
	ds_write_b64 v21, v[43:44] offset:800
	v_add_f32_e32 v17, v0, v87
	v_sub_f32_e32 v0, v122, v87
	v_sub_f32_e32 v21, v121, v123
	v_add3_u32 v29, 0, v18, v19
	v_mov_b32_e32 v18, v55
	v_mov_b32_e32 v19, v56
	v_fmac_f32_e32 v18, 0x3f5db3d7, v0
	v_fmac_f32_e32 v19, 0xbf5db3d7, v21
	ds_write2_b64 v29, v[16:17], v[18:19] offset1:50
	v_fmac_f32_e32 v55, 0xbf5db3d7, v0
	v_add_f32_e32 v0, v41, v124
	v_add_f32_e32 v16, v124, v88
	;; [unrolled: 1-line block ×3, first 2 shown]
	v_fma_f32 v41, -0.5, v16, v41
	v_add_f32_e32 v16, v0, v88
	v_add_f32_e32 v0, v42, v89
	v_fmac_f32_e32 v42, -0.5, v18
	v_mul_u32_u24_e32 v18, 0x4b0, v20
	v_lshlrev_b32_e32 v19, 3, v27
	v_fmac_f32_e32 v56, 0x3f5db3d7, v21
	v_add_f32_e32 v17, v0, v91
	v_sub_f32_e32 v0, v89, v91
	v_sub_f32_e32 v21, v124, v88
	v_add3_u32 v20, 0, v18, v19
	v_mov_b32_e32 v18, v41
	v_mov_b32_e32 v19, v42
	v_fmac_f32_e32 v18, 0x3f5db3d7, v0
	v_fmac_f32_e32 v19, 0xbf5db3d7, v21
	ds_write_b64 v29, v[55:56] offset:800
	ds_write2_b64 v20, v[16:17], v[18:19] offset1:50
	v_fmac_f32_e32 v41, 0xbf5db3d7, v0
	v_add_f32_e32 v0, v57, v90
	v_add_f32_e32 v16, v90, v92
	;; [unrolled: 1-line block ×3, first 2 shown]
	v_fmac_f32_e32 v42, 0x3f5db3d7, v21
	v_fma_f32 v57, -0.5, v16, v57
	v_add_f32_e32 v16, v0, v92
	v_add_f32_e32 v0, v58, v93
	v_fmac_f32_e32 v58, -0.5, v18
	v_mul_u32_u24_e32 v18, 0x4b0, v31
	v_lshlrev_b32_e32 v19, 3, v33
	ds_write_b64 v20, v[41:42] offset:800
	v_add_f32_e32 v17, v0, v95
	v_sub_f32_e32 v0, v93, v95
	v_sub_f32_e32 v20, v90, v92
	v_add3_u32 v21, 0, v18, v19
	v_mov_b32_e32 v18, v57
	v_mov_b32_e32 v19, v58
	v_fmac_f32_e32 v18, 0x3f5db3d7, v0
	v_fmac_f32_e32 v19, 0xbf5db3d7, v20
	ds_write2_b64 v21, v[16:17], v[18:19] offset1:50
	v_fmac_f32_e32 v57, 0xbf5db3d7, v0
	v_add_f32_e32 v0, v83, v94
	v_add_f32_e32 v16, v94, v104
	v_add_f32_e32 v18, v105, v107
	v_fmac_f32_e32 v58, 0x3f5db3d7, v20
	v_fma_f32 v83, -0.5, v16, v83
	v_add_f32_e32 v16, v0, v104
	v_add_f32_e32 v0, v84, v105
	v_fmac_f32_e32 v84, -0.5, v18
	v_mul_u32_u24_e32 v18, 0x4b0, v28
	v_lshlrev_b32_e32 v19, 3, v30
	ds_write_b64 v21, v[57:58] offset:800
	v_add_f32_e32 v17, v0, v107
	v_sub_f32_e32 v0, v105, v107
	v_sub_f32_e32 v20, v94, v104
	v_add3_u32 v21, 0, v18, v19
	v_mov_b32_e32 v18, v83
	v_mov_b32_e32 v19, v84
	v_fmac_f32_e32 v18, 0x3f5db3d7, v0
	v_fmac_f32_e32 v19, 0xbf5db3d7, v20
	ds_write2_b64 v21, v[16:17], v[18:19] offset1:50
	v_fmac_f32_e32 v83, 0xbf5db3d7, v0
	v_add_f32_e32 v0, v85, v106
	v_add_f32_e32 v16, v106, v108
	;; [unrolled: 1-line block ×3, first 2 shown]
	v_fmac_f32_e32 v84, 0x3f5db3d7, v20
	v_fma_f32 v85, -0.5, v16, v85
	v_add_f32_e32 v16, v0, v108
	v_add_f32_e32 v0, v86, v109
	v_fmac_f32_e32 v86, -0.5, v18
	v_mul_u32_u24_e32 v18, 0x4b0, v36
	v_lshlrev_b32_e32 v19, 3, v38
	ds_write_b64 v21, v[83:84] offset:800
	v_add_f32_e32 v17, v0, v111
	v_sub_f32_e32 v0, v109, v111
	v_add3_u32 v21, 0, v18, v19
	v_mov_b32_e32 v18, v85
	v_sub_f32_e32 v20, v106, v108
	v_fmac_f32_e32 v18, 0x3f5db3d7, v0
	v_mov_b32_e32 v19, v86
	v_fmac_f32_e32 v85, 0xbf5db3d7, v0
	v_mul_u32_u24_e32 v0, 0xda75, v1
	v_fmac_f32_e32 v19, 0xbf5db3d7, v20
	v_fmac_f32_e32 v86, 0x3f5db3d7, v20
	v_lshrrev_b32_e32 v20, 22, v0
	v_mul_lo_u16_e32 v0, 0x96, v20
	v_sub_u16_e32 v27, v75, v0
	v_lshlrev_b32_e32 v0, 4, v27
	ds_write2_b64 v21, v[16:17], v[18:19] offset1:50
	ds_write_b64 v21, v[85:86] offset:800
	s_waitcnt lgkmcnt(0)
	s_barrier
	global_load_dwordx4 v[32:35], v0, s[8:9] offset:1120
	v_mul_u32_u24_e32 v0, 0xda75, v2
	v_lshrrev_b32_e32 v16, 22, v0
	v_mul_lo_u16_e32 v0, 0x96, v16
	v_sub_u16_e32 v18, v74, v0
	v_lshlrev_b32_e32 v0, 4, v18
	global_load_dwordx4 v[36:39], v0, s[8:9] offset:1120
	v_mul_u32_u24_e32 v0, 0xda75, v3
	v_lshrrev_b32_e32 v19, 22, v0
	v_mul_lo_u16_e32 v0, 0x96, v19
	v_sub_u16_e32 v21, v71, v0
	v_lshlrev_b32_e32 v0, 4, v21
	;; [unrolled: 6-line block ×4, first 2 shown]
	global_load_dwordx4 v[48:51], v0, s[8:9] offset:1120
	ds_read2_b64 v[52:55], v72 offset0:84 offset1:219
	v_mul_u32_u24_e32 v0, 0xda75, v6
	v_mul_u32_u24_e32 v1, 0xda75, v7
	v_lshrrev_b32_e32 v28, 22, v0
	v_lshrrev_b32_e32 v4, 22, v1
	v_mul_lo_u16_e32 v0, 0x96, v28
	v_mul_lo_u16_e32 v1, 0x96, v4
	v_sub_u16_e32 v29, v68, v0
	v_sub_u16_e32 v6, v67, v1
	v_lshlrev_b32_e32 v0, 4, v29
	v_lshlrev_b32_e32 v1, 4, v6
	global_load_dwordx4 v[56:59], v0, s[8:9] offset:1120
	global_load_dwordx4 v[87:90], v1, s[8:9] offset:1120
	v_mov_b32_e32 v1, 0
	ds_read2_b64 v[83:86], v82 offset0:26 offset1:161
	v_mul_u32_u24_e32 v20, 0xe10, v20
	v_lshlrev_b32_e32 v27, 3, v27
	v_add3_u32 v20, 0, v20, v27
	v_mul_u32_u24_e32 v16, 0xe10, v16
	v_lshlrev_b32_e32 v18, 3, v18
	v_add3_u32 v16, 0, v16, v18
	v_mul_u32_u24_e32 v5, 0xe10, v5
	v_mul_u32_u24_e32 v4, 0xe10, v4
	s_waitcnt vmcnt(6) lgkmcnt(1)
	v_mul_f32_e32 v0, v53, v33
	v_fma_f32 v103, v52, v32, -v0
	v_mul_u32_u24_e32 v0, 0xda75, v15
	v_lshrrev_b32_e32 v0, 22, v0
	v_mul_lo_u16_e32 v0, 0x96, v0
	v_sub_u16_e32 v7, v66, v0
	v_lshlrev_b32_e32 v0, 4, v7
	global_load_dwordx4 v[91:94], v0, s[8:9] offset:1120
	v_lshlrev_b32_e32 v0, 1, v60
	v_lshlrev_b64 v[2:3], 3, v[0:1]
	v_mov_b32_e32 v15, s9
	v_add_co_u32_e32 v2, vcc, s8, v2
	v_addc_co_u32_e32 v3, vcc, v15, v3, vcc
	v_mul_f32_e32 v104, v52, v33
	global_load_dwordx4 v[95:98], v[2:3], off offset:1120
	v_fmac_f32_e32 v104, v53, v32
	v_add_u32_e32 v32, -15, v60
	v_cmp_gt_u32_e32 vcc, 15, v60
	v_cndmask_b32_e32 v105, v32, v64, vcc
	v_lshlrev_b32_e32 v32, 1, v105
	v_mov_b32_e32 v33, v1
	v_lshlrev_b64 v[32:33], 3, v[32:33]
	s_waitcnt lgkmcnt(0)
	v_mul_f32_e32 v52, v84, v35
	v_add_co_u32_e32 v32, vcc, s8, v32
	v_addc_co_u32_e32 v33, vcc, v15, v33, vcc
	global_load_dwordx4 v[99:102], v[32:33], off offset:1120
	v_fma_f32 v106, v83, v34, -v52
	v_mul_f32_e32 v83, v83, v35
	s_waitcnt vmcnt(8)
	v_mul_f32_e32 v32, v55, v37
	v_mul_f32_e32 v107, v54, v37
	v_fmac_f32_e32 v83, v84, v34
	v_fma_f32 v84, v54, v36, -v32
	v_fmac_f32_e32 v107, v55, v36
	v_mul_f32_e32 v36, v86, v39
	ds_read2_b64 v[32:35], v79 offset0:98 offset1:233
	v_fma_f32 v108, v85, v38, -v36
	v_mul_f32_e32 v85, v85, v39
	v_fmac_f32_e32 v85, v86, v38
	ds_read2_b64 v[36:39], v70 offset0:40 offset1:175
	s_waitcnt vmcnt(7) lgkmcnt(1)
	v_mul_f32_e32 v52, v33, v41
	v_fma_f32 v86, v32, v40, -v52
	v_mul_f32_e32 v109, v32, v41
	s_waitcnt vmcnt(6)
	v_mul_f32_e32 v113, v34, v45
	s_waitcnt lgkmcnt(0)
	v_mul_f32_e32 v32, v37, v43
	v_fma_f32 v110, v36, v42, -v32
	v_mul_f32_e32 v32, v35, v45
	v_fmac_f32_e32 v109, v33, v40
	v_mul_f32_e32 v111, v36, v43
	v_fma_f32 v112, v34, v44, -v32
	v_fmac_f32_e32 v113, v35, v44
	v_mul_f32_e32 v36, v39, v47
	ds_read2_b64 v[32:35], v81 offset0:112 offset1:247
	v_mul_f32_e32 v115, v38, v47
	v_fmac_f32_e32 v111, v37, v42
	v_fma_f32 v114, v38, v46, -v36
	v_fmac_f32_e32 v115, v39, v46
	ds_read2_b64 v[36:39], v78 offset0:54 offset1:189
	s_waitcnt vmcnt(5) lgkmcnt(1)
	v_mul_f32_e32 v40, v33, v49
	v_fma_f32 v116, v32, v48, -v40
	v_mul_f32_e32 v117, v32, v49
	v_fmac_f32_e32 v117, v33, v48
	s_waitcnt lgkmcnt(0)
	v_mul_f32_e32 v32, v37, v51
	v_fma_f32 v118, v36, v50, -v32
	s_waitcnt vmcnt(4)
	v_mul_f32_e32 v32, v35, v57
	v_mul_f32_e32 v57, v34, v57
	;; [unrolled: 1-line block ×3, first 2 shown]
	v_fma_f32 v120, v34, v56, -v32
	v_fmac_f32_e32 v57, v35, v56
	v_mul_f32_e32 v36, v39, v59
	ds_read2_b64 v[32:35], v65 offset0:62 offset1:197
	v_mul_f32_e32 v59, v38, v59
	v_fmac_f32_e32 v119, v37, v50
	v_fma_f32 v56, v38, v58, -v36
	v_fmac_f32_e32 v59, v39, v58
	ds_read2_b64 v[36:39], v80 offset0:68 offset1:203
	s_waitcnt vmcnt(3) lgkmcnt(1)
	v_mul_f32_e32 v40, v33, v88
	v_fma_f32 v58, v32, v87, -v40
	v_mul_f32_e32 v88, v32, v88
	v_fmac_f32_e32 v88, v33, v87
	s_waitcnt lgkmcnt(0)
	v_mul_f32_e32 v32, v37, v90
	v_fma_f32 v87, v36, v89, -v32
	v_mul_f32_e32 v90, v36, v90
	v_fmac_f32_e32 v90, v37, v89
	s_waitcnt vmcnt(2)
	v_mul_f32_e32 v32, v35, v92
	v_fma_f32 v89, v34, v91, -v32
	v_mul_f32_e32 v92, v34, v92
	v_mul_f32_e32 v32, v39, v94
	;; [unrolled: 1-line block ×3, first 2 shown]
	v_fmac_f32_e32 v92, v35, v91
	v_fma_f32 v91, v38, v93, -v32
	v_fmac_f32_e32 v94, v39, v93
	ds_read_b64 v[36:37], v77 offset:10800
	ds_read2_b64 v[32:35], v76 offset0:12 offset1:147
	ds_read_b64 v[38:39], v24
	ds_read_b64 v[40:41], v25
	;; [unrolled: 1-line block ×3, first 2 shown]
	s_waitcnt vmcnt(1) lgkmcnt(4)
	v_mul_f32_e32 v44, v96, v37
	v_fma_f32 v44, v95, v36, -v44
	v_mul_f32_e32 v36, v96, v36
	v_fmac_f32_e32 v36, v95, v37
	s_waitcnt lgkmcnt(3)
	v_mul_f32_e32 v37, v98, v33
	v_mul_f32_e32 v45, v98, v32
	v_fma_f32 v37, v97, v32, -v37
	v_fmac_f32_e32 v45, v97, v33
	ds_read2_b32 v[32:33], v26 offset0:154 offset1:155
	v_sub_f32_e32 v98, v36, v45
	v_cmp_lt_u32_e32 vcc, 14, v60
	v_add_f32_e32 v27, v84, v108
	v_add_f32_e32 v18, v86, v110
	s_waitcnt vmcnt(0)
	v_mul_f32_e32 v46, v35, v102
	s_waitcnt lgkmcnt(0)
	v_mul_f32_e32 v97, v100, v32
	v_fma_f32 v93, v34, v101, -v46
	v_mul_f32_e32 v95, v34, v102
	v_mul_f32_e32 v34, v33, v100
	v_fmac_f32_e32 v97, v33, v99
	v_add_f32_e32 v33, v44, v37
	v_fma_f32 v96, v99, v32, -v34
	v_add_f32_e32 v32, v42, v44
	v_fma_f32 v42, -0.5, v33, v42
	v_add_f32_e32 v33, v43, v36
	v_add_f32_e32 v34, v36, v45
	;; [unrolled: 1-line block ×4, first 2 shown]
	v_fmac_f32_e32 v43, -0.5, v34
	v_sub_f32_e32 v99, v44, v37
	ds_read_b64 v[36:37], v9
	ds_read_b64 v[44:45], v8
	;; [unrolled: 1-line block ×7, first 2 shown]
	v_fmac_f32_e32 v95, v35, v101
	v_mov_b32_e32 v34, v42
	v_mov_b32_e32 v35, v43
	v_fmac_f32_e32 v34, 0x3f5db3d7, v98
	v_fmac_f32_e32 v35, 0xbf5db3d7, v99
	s_waitcnt lgkmcnt(0)
	s_barrier
	ds_write2_b64 v77, v[32:33], v[34:35] offset1:150
	v_add_f32_e32 v33, v96, v93
	v_add_f32_e32 v34, v97, v95
	v_add_f32_e32 v32, v52, v96
	v_fma_f32 v52, -0.5, v33, v52
	v_add_f32_e32 v33, v53, v97
	v_fmac_f32_e32 v53, -0.5, v34
	v_mov_b32_e32 v34, 0xe10
	v_fmac_f32_e32 v42, 0xbf5db3d7, v98
	v_fmac_f32_e32 v43, 0x3f5db3d7, v99
	v_cndmask_b32_e32 v34, 0, v34, vcc
	v_lshlrev_b32_e32 v35, 3, v105
	ds_write_b64 v77, v[42:43] offset:2400
	v_add_f32_e32 v32, v32, v93
	v_sub_f32_e32 v42, v97, v95
	v_sub_f32_e32 v43, v96, v93
	v_add3_u32 v93, 0, v34, v35
	v_mov_b32_e32 v34, v52
	v_mov_b32_e32 v35, v53
	v_add_f32_e32 v33, v33, v95
	v_fmac_f32_e32 v34, 0x3f5db3d7, v42
	v_fmac_f32_e32 v35, 0xbf5db3d7, v43
	ds_write2_b64 v93, v[32:33], v[34:35] offset1:150
	v_add_f32_e32 v33, v103, v106
	v_add_f32_e32 v34, v104, v83
	;; [unrolled: 1-line block ×3, first 2 shown]
	v_fma_f32 v50, -0.5, v33, v50
	v_add_f32_e32 v33, v51, v104
	v_fmac_f32_e32 v51, -0.5, v34
	v_fmac_f32_e32 v52, 0xbf5db3d7, v42
	v_fmac_f32_e32 v53, 0x3f5db3d7, v43
	v_sub_f32_e32 v42, v104, v83
	v_sub_f32_e32 v43, v103, v106
	v_mov_b32_e32 v34, v50
	v_mov_b32_e32 v35, v51
	v_add_f32_e32 v32, v32, v106
	v_add_f32_e32 v33, v33, v83
	v_fmac_f32_e32 v34, 0x3f5db3d7, v42
	v_fmac_f32_e32 v35, 0xbf5db3d7, v43
	;; [unrolled: 1-line block ×4, first 2 shown]
	ds_write_b64 v93, v[52:53] offset:2400
	ds_write2_b64 v20, v[32:33], v[34:35] offset1:150
	ds_write_b64 v20, v[50:51] offset:2400
	v_add_f32_e32 v20, v40, v84
	v_fma_f32 v40, -0.5, v27, v40
	v_add_f32_e32 v27, v107, v85
	v_add_f32_e32 v32, v20, v108
	;; [unrolled: 1-line block ×3, first 2 shown]
	v_fmac_f32_e32 v41, -0.5, v27
	v_add_f32_e32 v33, v20, v85
	v_sub_f32_e32 v20, v107, v85
	v_sub_f32_e32 v27, v84, v108
	v_mov_b32_e32 v34, v40
	v_mov_b32_e32 v35, v41
	v_fmac_f32_e32 v34, 0x3f5db3d7, v20
	v_fmac_f32_e32 v35, 0xbf5db3d7, v27
	;; [unrolled: 1-line block ×4, first 2 shown]
	ds_write2_b64 v16, v[32:33], v[34:35] offset1:150
	ds_write_b64 v16, v[40:41] offset:2400
	v_add_f32_e32 v16, v36, v86
	v_fma_f32 v36, -0.5, v18, v36
	v_add_f32_e32 v18, v109, v111
	v_add_f32_e32 v32, v16, v110
	;; [unrolled: 1-line block ×3, first 2 shown]
	v_fmac_f32_e32 v37, -0.5, v18
	v_mul_u32_u24_e32 v18, 0xe10, v19
	v_lshlrev_b32_e32 v19, 3, v21
	v_add_f32_e32 v33, v16, v111
	v_sub_f32_e32 v16, v109, v111
	v_sub_f32_e32 v20, v86, v110
	v_add3_u32 v21, 0, v18, v19
	v_mov_b32_e32 v18, v36
	v_mov_b32_e32 v19, v37
	v_fmac_f32_e32 v18, 0x3f5db3d7, v16
	v_fmac_f32_e32 v19, 0xbf5db3d7, v20
	ds_write2_b64 v21, v[32:33], v[18:19] offset1:150
	v_fmac_f32_e32 v36, 0xbf5db3d7, v16
	v_fmac_f32_e32 v37, 0x3f5db3d7, v20
	v_add_f32_e32 v16, v44, v112
	v_add_f32_e32 v18, v112, v114
	;; [unrolled: 1-line block ×3, first 2 shown]
	ds_write_b64 v21, v[36:37] offset:2400
	v_fma_f32 v44, -0.5, v18, v44
	v_add_f32_e32 v18, v16, v114
	v_add_f32_e32 v16, v45, v113
	v_fmac_f32_e32 v45, -0.5, v20
	v_mul_u32_u24_e32 v20, 0xe10, v30
	v_lshlrev_b32_e32 v21, 3, v31
	v_add_f32_e32 v19, v16, v115
	v_sub_f32_e32 v16, v113, v115
	v_sub_f32_e32 v27, v112, v114
	v_add3_u32 v30, 0, v20, v21
	v_mov_b32_e32 v20, v44
	v_mov_b32_e32 v21, v45
	v_fmac_f32_e32 v20, 0x3f5db3d7, v16
	v_fmac_f32_e32 v21, 0xbf5db3d7, v27
	ds_write2_b64 v30, v[18:19], v[20:21] offset1:150
	v_fmac_f32_e32 v44, 0xbf5db3d7, v16
	v_add_f32_e32 v16, v38, v116
	v_add_f32_e32 v18, v116, v118
	v_fma_f32 v38, -0.5, v18, v38
	v_add_f32_e32 v18, v16, v118
	v_add_f32_e32 v16, v39, v117
	v_add_f32_e32 v19, v16, v119
	v_add_f32_e32 v16, v117, v119
	v_fmac_f32_e32 v39, -0.5, v16
	v_lshlrev_b32_e32 v16, 3, v17
	v_sub_f32_e32 v20, v117, v119
	v_sub_f32_e32 v21, v116, v118
	v_add3_u32 v5, 0, v5, v16
	v_mov_b32_e32 v16, v38
	v_mov_b32_e32 v17, v39
	v_fmac_f32_e32 v45, 0x3f5db3d7, v27
	v_fmac_f32_e32 v16, 0x3f5db3d7, v20
	;; [unrolled: 1-line block ×5, first 2 shown]
	ds_write_b64 v30, v[44:45] offset:2400
	ds_write2_b64 v5, v[18:19], v[16:17] offset1:150
	ds_write_b64 v5, v[38:39] offset:2400
	v_add_f32_e32 v5, v46, v120
	v_add_f32_e32 v16, v120, v56
	;; [unrolled: 1-line block ×3, first 2 shown]
	v_fma_f32 v46, -0.5, v16, v46
	v_add_f32_e32 v16, v5, v56
	v_add_f32_e32 v5, v47, v57
	v_fmac_f32_e32 v47, -0.5, v18
	v_mul_u32_u24_e32 v18, 0xe10, v28
	v_lshlrev_b32_e32 v19, 3, v29
	v_add_f32_e32 v17, v5, v59
	v_sub_f32_e32 v5, v57, v59
	v_sub_f32_e32 v20, v120, v56
	v_add3_u32 v21, 0, v18, v19
	v_mov_b32_e32 v18, v46
	v_mov_b32_e32 v19, v47
	v_fmac_f32_e32 v18, 0x3f5db3d7, v5
	v_fmac_f32_e32 v19, 0xbf5db3d7, v20
	ds_write2_b64 v21, v[16:17], v[18:19] offset1:150
	v_fmac_f32_e32 v46, 0xbf5db3d7, v5
	v_add_f32_e32 v5, v48, v58
	v_add_f32_e32 v16, v58, v87
	v_fma_f32 v48, -0.5, v16, v48
	v_add_f32_e32 v16, v5, v87
	v_add_f32_e32 v5, v49, v88
	v_add_f32_e32 v17, v5, v90
	v_add_f32_e32 v5, v88, v90
	v_fmac_f32_e32 v49, -0.5, v5
	v_lshlrev_b32_e32 v5, 3, v6
	v_sub_f32_e32 v18, v88, v90
	v_sub_f32_e32 v19, v58, v87
	v_add3_u32 v6, 0, v4, v5
	v_mov_b32_e32 v4, v48
	v_mov_b32_e32 v5, v49
	v_fmac_f32_e32 v47, 0x3f5db3d7, v20
	v_fmac_f32_e32 v4, 0x3f5db3d7, v18
	;; [unrolled: 1-line block ×3, first 2 shown]
	ds_write_b64 v21, v[46:47] offset:2400
	ds_write2_b64 v6, v[16:17], v[4:5] offset1:150
	v_add_f32_e32 v5, v89, v91
	v_add_f32_e32 v16, v92, v94
	v_fmac_f32_e32 v48, 0xbf5db3d7, v18
	v_fmac_f32_e32 v49, 0x3f5db3d7, v19
	v_add_f32_e32 v4, v54, v89
	v_fma_f32 v54, -0.5, v5, v54
	v_add_f32_e32 v5, v55, v92
	v_fmac_f32_e32 v55, -0.5, v16
	ds_write_b64 v6, v[48:49] offset:2400
	v_sub_f32_e32 v6, v92, v94
	v_sub_f32_e32 v18, v89, v91
	v_mov_b32_e32 v16, v54
	v_mov_b32_e32 v17, v55
	v_lshl_add_u32 v7, v7, 3, 0
	v_add_f32_e32 v4, v4, v91
	v_add_f32_e32 v5, v5, v94
	v_fmac_f32_e32 v16, 0x3f5db3d7, v6
	v_fmac_f32_e32 v17, 0xbf5db3d7, v18
	v_add_u32_e32 v19, 0x7000, v7
	ds_write2_b64 v19, v[4:5], v[16:17] offset0:16 offset1:166
	v_lshlrev_b32_e32 v4, 1, v75
	v_mov_b32_e32 v5, v1
	v_lshlrev_b64 v[4:5], 3, v[4:5]
	v_fmac_f32_e32 v54, 0xbf5db3d7, v6
	v_fmac_f32_e32 v55, 0x3f5db3d7, v18
	v_add_co_u32_e32 v6, vcc, s8, v4
	ds_write_b64 v7, v[54:55] offset:31200
	v_addc_co_u32_e32 v7, vcc, v15, v5, vcc
	s_waitcnt lgkmcnt(0)
	s_barrier
	global_load_dwordx4 v[27:30], v[6:7], off offset:3520
	v_subrev_u32_e32 v4, 45, v60
	v_cmp_gt_u32_e32 vcc, 45, v60
	v_cndmask_b32_e32 v16, v4, v74, vcc
	v_lshlrev_b32_e32 v4, 1, v16
	v_mov_b32_e32 v5, v1
	v_lshlrev_b64 v[4:5], 3, v[4:5]
	v_mul_u32_u24_sdwa v17, v69, s5 dst_sel:DWORD dst_unused:UNUSED_PAD src0_sel:WORD_0 src1_sel:DWORD
	v_add_co_u32_e32 v4, vcc, s8, v4
	v_addc_co_u32_e32 v5, vcc, v15, v5, vcc
	global_load_dwordx4 v[31:34], v[4:5], off offset:3520
	v_add_u32_e32 v4, 0xb4, v0
	v_mov_b32_e32 v5, v1
	v_lshlrev_b64 v[4:5], 3, v[4:5]
	v_add_u32_e32 v0, 0x1c2, v0
	v_add_co_u32_e32 v4, vcc, s8, v4
	v_addc_co_u32_e32 v5, vcc, v15, v5, vcc
	global_load_dwordx4 v[35:38], v[4:5], off offset:3520
	v_lshlrev_b64 v[4:5], 3, v[0:1]
	v_mul_lo_u16_sdwa v0, v17, s4 dst_sel:DWORD dst_unused:UNUSED_PAD src0_sel:BYTE_3 src1_sel:DWORD
	v_add_co_u32_e32 v4, vcc, s8, v4
	v_addc_co_u32_e32 v5, vcc, v15, v5, vcc
	global_load_dwordx4 v[39:42], v[4:5], off offset:3520
	v_sub_u16_e32 v18, v69, v0
	v_lshlrev_b32_e32 v0, 4, v18
	global_load_dwordx4 v[43:46], v0, s[8:9] offset:3520
	v_mul_u32_u24_sdwa v0, v68, s5 dst_sel:DWORD dst_unused:UNUSED_PAD src0_sel:WORD_0 src1_sel:DWORD
	v_mul_lo_u16_sdwa v0, v0, s4 dst_sel:DWORD dst_unused:UNUSED_PAD src0_sel:BYTE_3 src1_sel:DWORD
	v_sub_u16_e32 v20, v68, v0
	v_lshlrev_b32_e32 v0, 4, v20
	global_load_dwordx4 v[47:50], v0, s[8:9] offset:3520
	v_mul_u32_u24_sdwa v0, v67, s5 dst_sel:DWORD dst_unused:UNUSED_PAD src0_sel:WORD_0 src1_sel:DWORD
	v_mul_lo_u16_sdwa v0, v0, s4 dst_sel:DWORD dst_unused:UNUSED_PAD src0_sel:BYTE_3 src1_sel:DWORD
	;; [unrolled: 5-line block ×3, first 2 shown]
	v_sub_u16_e32 v19, v66, v4
	v_lshlrev_b32_e32 v4, 4, v19
	global_load_dwordx4 v[55:58], v4, s[8:9] offset:3520
	ds_read2_b64 v[83:86], v72 offset0:84 offset1:219
	ds_read2_b64 v[87:90], v82 offset0:26 offset1:161
	global_load_dwordx4 v[91:94], v[2:3], off offset:3520
	v_mov_b32_e32 v5, v1
	v_lshlrev_b32_e32 v16, 3, v16
	s_movk_i32 s4, 0x2a30
	v_lshl_add_u32 v0, v0, 3, 0
	s_waitcnt vmcnt(8) lgkmcnt(1)
	v_mul_f32_e32 v4, v84, v28
	v_fma_f32 v21, v83, v27, -v4
	v_lshlrev_b32_e32 v4, 1, v64
	v_lshlrev_b64 v[4:5], 3, v[4:5]
	v_mul_f32_e32 v59, v83, v28
	v_add_co_u32_e32 v4, vcc, s8, v4
	v_addc_co_u32_e32 v5, vcc, v15, v5, vcc
	global_load_dwordx4 v[95:98], v[4:5], off offset:3520
	v_fmac_f32_e32 v59, v84, v27
	s_waitcnt lgkmcnt(0)
	v_mul_f32_e32 v27, v88, v30
	v_fma_f32 v83, v87, v29, -v27
	s_waitcnt vmcnt(8)
	v_mul_f32_e32 v27, v86, v32
	v_mul_f32_e32 v84, v87, v30
	v_fma_f32 v87, v85, v31, -v27
	v_mul_f32_e32 v85, v85, v32
	v_fmac_f32_e32 v84, v88, v29
	v_fmac_f32_e32 v85, v86, v31
	v_mul_f32_e32 v31, v90, v34
	ds_read2_b64 v[27:30], v79 offset0:98 offset1:233
	v_mul_f32_e32 v88, v89, v34
	v_fma_f32 v86, v89, v33, -v31
	v_fmac_f32_e32 v88, v90, v33
	ds_read2_b64 v[31:34], v70 offset0:40 offset1:175
	s_waitcnt vmcnt(7) lgkmcnt(1)
	v_mul_f32_e32 v89, v28, v36
	v_fma_f32 v89, v27, v35, -v89
	v_mul_f32_e32 v90, v27, v36
	s_waitcnt vmcnt(6)
	v_mul_f32_e32 v102, v29, v40
	s_waitcnt lgkmcnt(0)
	v_mul_f32_e32 v27, v32, v38
	v_fma_f32 v99, v31, v37, -v27
	v_mul_f32_e32 v27, v30, v40
	v_fmac_f32_e32 v90, v28, v35
	v_mul_f32_e32 v100, v31, v38
	v_fma_f32 v101, v29, v39, -v27
	v_fmac_f32_e32 v102, v30, v39
	v_mul_f32_e32 v31, v34, v42
	ds_read2_b64 v[27:30], v81 offset0:112 offset1:247
	v_mul_f32_e32 v104, v33, v42
	v_fmac_f32_e32 v100, v32, v37
	v_fma_f32 v103, v33, v41, -v31
	v_fmac_f32_e32 v104, v34, v41
	ds_read2_b64 v[31:34], v78 offset0:54 offset1:189
	s_waitcnt vmcnt(5) lgkmcnt(1)
	v_mul_f32_e32 v35, v28, v44
	v_fma_f32 v105, v27, v43, -v35
	v_mul_f32_e32 v106, v27, v44
	s_waitcnt vmcnt(4)
	v_mul_f32_e32 v110, v29, v48
	s_waitcnt lgkmcnt(0)
	v_mul_f32_e32 v27, v32, v46
	v_fma_f32 v107, v31, v45, -v27
	v_mul_f32_e32 v27, v30, v48
	v_fmac_f32_e32 v106, v28, v43
	v_mul_f32_e32 v108, v31, v46
	v_fma_f32 v109, v29, v47, -v27
	v_fmac_f32_e32 v110, v30, v47
	v_mul_f32_e32 v31, v34, v50
	ds_read2_b64 v[27:30], v65 offset0:62 offset1:197
	v_mul_f32_e32 v50, v33, v50
	v_fmac_f32_e32 v108, v32, v45
	v_fma_f32 v111, v33, v49, -v31
	v_fmac_f32_e32 v50, v34, v49
	ds_read2_b64 v[31:34], v80 offset0:68 offset1:203
	s_waitcnt vmcnt(3) lgkmcnt(1)
	v_mul_f32_e32 v35, v28, v52
	v_fma_f32 v49, v27, v51, -v35
	v_mul_f32_e32 v52, v27, v52
	v_fmac_f32_e32 v52, v28, v51
	s_waitcnt lgkmcnt(0)
	v_mul_f32_e32 v27, v32, v54
	v_fma_f32 v51, v31, v53, -v27
	v_mul_f32_e32 v54, v31, v54
	s_waitcnt vmcnt(2)
	v_mul_f32_e32 v27, v30, v56
	v_fmac_f32_e32 v54, v32, v53
	v_fma_f32 v53, v29, v55, -v27
	v_mul_f32_e32 v56, v29, v56
	v_mul_f32_e32 v27, v34, v58
	;; [unrolled: 1-line block ×3, first 2 shown]
	v_fmac_f32_e32 v56, v30, v55
	v_fma_f32 v55, v33, v57, -v27
	v_fmac_f32_e32 v58, v34, v57
	ds_read_b64 v[31:32], v77 offset:10800
	ds_read2_b64 v[27:30], v76 offset0:12 offset1:147
	ds_read_b64 v[33:34], v24
	ds_read_b64 v[35:36], v25
	;; [unrolled: 1-line block ×3, first 2 shown]
	s_waitcnt vmcnt(1) lgkmcnt(4)
	v_mul_f32_e32 v39, v92, v32
	v_fma_f32 v57, v91, v31, -v39
	v_mul_f32_e32 v92, v92, v31
	s_waitcnt lgkmcnt(3)
	v_mul_f32_e32 v31, v94, v28
	v_mul_f32_e32 v94, v94, v27
	v_fmac_f32_e32 v92, v91, v32
	v_fma_f32 v91, v93, v27, -v31
	v_fmac_f32_e32 v94, v93, v28
	ds_read2_b32 v[27:28], v26 offset0:154 offset1:155
	v_cmp_lt_u32_e32 vcc, 44, v60
	s_waitcnt vmcnt(0)
	v_mul_f32_e32 v31, v30, v98
	v_fma_f32 v93, v29, v97, -v31
	v_mul_f32_e32 v98, v29, v98
	s_waitcnt lgkmcnt(0)
	v_mul_f32_e32 v29, v28, v96
	v_mul_f32_e32 v96, v96, v27
	v_fmac_f32_e32 v98, v30, v97
	v_fma_f32 v97, v95, v27, -v29
	v_fmac_f32_e32 v96, v28, v95
	v_add_f32_e32 v27, v37, v57
	v_add_f32_e32 v28, v38, v92
	;; [unrolled: 1-line block ×4, first 2 shown]
	ds_read_b64 v[29:30], v9
	ds_read_b64 v[31:32], v8
	;; [unrolled: 1-line block ×7, first 2 shown]
	s_waitcnt lgkmcnt(0)
	s_barrier
	ds_write_b64 v77, v[27:28]
	v_add_f32_e32 v27, v57, v91
	v_fma_f32 v37, -0.5, v27, v37
	v_add_f32_e32 v27, v92, v94
	v_fmac_f32_e32 v38, -0.5, v27
	v_sub_f32_e32 v95, v92, v94
	v_sub_f32_e32 v57, v57, v91
	v_mov_b32_e32 v27, v37
	v_mov_b32_e32 v28, v38
	v_fmac_f32_e32 v27, 0x3f5db3d7, v95
	v_fmac_f32_e32 v28, 0xbf5db3d7, v57
	ds_write_b64 v77, v[27:28] offset:3600
	v_add_f32_e32 v27, v45, v97
	v_add_f32_e32 v28, v46, v96
	v_fmac_f32_e32 v37, 0xbf5db3d7, v95
	v_fmac_f32_e32 v38, 0x3f5db3d7, v57
	v_add_f32_e32 v27, v27, v93
	v_add_f32_e32 v28, v28, v98
	ds_write_b64 v77, v[37:38] offset:7200
	ds_write_b64 v11, v[27:28]
	v_add_f32_e32 v27, v97, v93
	v_fma_f32 v45, -0.5, v27, v45
	v_add_f32_e32 v27, v96, v98
	v_fmac_f32_e32 v46, -0.5, v27
	v_sub_f32_e32 v37, v96, v98
	v_sub_f32_e32 v38, v97, v93
	v_mov_b32_e32 v27, v45
	v_mov_b32_e32 v28, v46
	v_fmac_f32_e32 v27, 0x3f5db3d7, v37
	v_fmac_f32_e32 v28, 0xbf5db3d7, v38
	ds_write_b64 v11, v[27:28] offset:3600
	v_add_f32_e32 v27, v43, v21
	v_add_f32_e32 v28, v44, v59
	v_fmac_f32_e32 v45, 0xbf5db3d7, v37
	v_fmac_f32_e32 v46, 0x3f5db3d7, v38
	v_add_f32_e32 v27, v27, v83
	v_add_f32_e32 v28, v28, v84
	ds_write_b64 v11, v[45:46] offset:7200
	ds_write_b64 v10, v[27:28]
	v_add_f32_e32 v27, v21, v83
	v_fma_f32 v43, -0.5, v27, v43
	v_add_f32_e32 v27, v59, v84
	v_fmac_f32_e32 v44, -0.5, v27
	v_sub_f32_e32 v37, v59, v84
	v_sub_f32_e32 v21, v21, v83
	v_mov_b32_e32 v27, v43
	v_mov_b32_e32 v28, v44
	v_fmac_f32_e32 v27, 0x3f5db3d7, v37
	v_fmac_f32_e32 v28, 0xbf5db3d7, v21
	;; [unrolled: 1-line block ×3, first 2 shown]
	v_add_f32_e32 v21, v35, v87
	ds_write_b64 v10, v[27:28] offset:3600
	v_add_f32_e32 v27, v21, v86
	v_add_f32_e32 v21, v36, v85
	;; [unrolled: 1-line block ×3, first 2 shown]
	v_mov_b32_e32 v21, 0x2a30
	v_cndmask_b32_e32 v21, 0, v21, vcc
	v_fmac_f32_e32 v43, 0xbf5db3d7, v37
	v_add3_u32 v16, 0, v21, v16
	ds_write_b64 v10, v[43:44] offset:7200
	ds_write_b64 v16, v[27:28]
	v_add_f32_e32 v21, v87, v86
	v_add_f32_e32 v27, v85, v88
	v_fma_f32 v35, -0.5, v21, v35
	v_fmac_f32_e32 v36, -0.5, v27
	v_sub_f32_e32 v21, v85, v88
	v_sub_f32_e32 v37, v87, v86
	v_mov_b32_e32 v27, v35
	v_mov_b32_e32 v28, v36
	v_fmac_f32_e32 v27, 0x3f5db3d7, v21
	v_fmac_f32_e32 v28, 0xbf5db3d7, v37
	ds_write_b64 v16, v[27:28] offset:3600
	v_fmac_f32_e32 v35, 0xbf5db3d7, v21
	v_fmac_f32_e32 v36, 0x3f5db3d7, v37
	v_add_f32_e32 v21, v89, v99
	v_add_f32_e32 v27, v90, v100
	ds_write_b64 v16, v[35:36] offset:7200
	v_add_f32_e32 v16, v29, v89
	v_fma_f32 v29, -0.5, v21, v29
	v_add_f32_e32 v21, v30, v90
	v_fmac_f32_e32 v30, -0.5, v27
	v_add_f32_e32 v27, v101, v103
	v_add_f32_e32 v37, v31, v101
	v_fma_f32 v31, -0.5, v27, v31
	v_add_f32_e32 v27, v102, v104
	v_add_f32_e32 v38, v32, v102
	v_fmac_f32_e32 v32, -0.5, v27
	v_sub_f32_e32 v43, v90, v100
	v_sub_f32_e32 v44, v89, v99
	;; [unrolled: 1-line block ×4, first 2 shown]
	v_mov_b32_e32 v27, v29
	v_fmac_f32_e32 v29, 0xbf5db3d7, v43
	v_mov_b32_e32 v28, v30
	v_fmac_f32_e32 v30, 0x3f5db3d7, v44
	;; [unrolled: 2-line block ×4, first 2 shown]
	v_add_u32_e32 v57, 0x4800, v77
	ds_write2_b64 v57, v[29:30], v[31:32] offset0:36 offset1:171
	v_add_f32_e32 v29, v16, v99
	v_fmac_f32_e32 v27, 0x3f5db3d7, v43
	v_fmac_f32_e32 v28, 0xbf5db3d7, v44
	;; [unrolled: 1-line block ×4, first 2 shown]
	v_add_f32_e32 v16, v33, v105
	ds_write2_b64 v79, v[27:28], v[35:36] offset0:98 offset1:233
	v_add_f32_e32 v27, v16, v107
	v_add_f32_e32 v16, v34, v106
	;; [unrolled: 1-line block ×3, first 2 shown]
	v_mul_u32_u24_sdwa v16, v17, s4 dst_sel:DWORD dst_unused:UNUSED_PAD src0_sel:BYTE_3 src1_sel:DWORD
	v_lshlrev_b32_e32 v17, 3, v18
	v_add3_u32 v18, 0, v16, v17
	v_add_f32_e32 v16, v105, v107
	v_fma_f32 v33, -0.5, v16, v33
	v_add_f32_e32 v16, v106, v108
	v_add_f32_e32 v30, v21, v100
	;; [unrolled: 1-line block ×4, first 2 shown]
	v_fmac_f32_e32 v34, -0.5, v16
	ds_write2_b64 v26, v[29:30], v[31:32] offset0:32 offset1:167
	ds_write_b64 v18, v[27:28]
	v_sub_f32_e32 v21, v106, v108
	v_sub_f32_e32 v27, v105, v107
	v_mov_b32_e32 v16, v33
	v_mov_b32_e32 v17, v34
	v_fmac_f32_e32 v16, 0x3f5db3d7, v21
	v_fmac_f32_e32 v17, 0xbf5db3d7, v27
	ds_write_b64 v18, v[16:17] offset:3600
	v_fmac_f32_e32 v33, 0xbf5db3d7, v21
	v_fmac_f32_e32 v34, 0x3f5db3d7, v27
	v_add_f32_e32 v16, v39, v109
	v_add_f32_e32 v17, v40, v110
	ds_write_b64 v18, v[33:34] offset:7200
	v_add_f32_e32 v16, v16, v111
	v_add_f32_e32 v17, v17, v50
	v_lshl_add_u32 v18, v20, 3, 0
	ds_write_b64 v18, v[16:17] offset:21600
	v_add_f32_e32 v16, v109, v111
	v_fma_f32 v39, -0.5, v16, v39
	v_add_f32_e32 v16, v110, v50
	v_fmac_f32_e32 v40, -0.5, v16
	v_sub_f32_e32 v20, v110, v50
	v_sub_f32_e32 v21, v109, v111
	v_mov_b32_e32 v16, v39
	v_mov_b32_e32 v17, v40
	v_fmac_f32_e32 v16, 0x3f5db3d7, v20
	v_fmac_f32_e32 v17, 0xbf5db3d7, v21
	ds_write_b64 v18, v[16:17] offset:25200
	v_add_f32_e32 v16, v41, v49
	v_add_f32_e32 v17, v42, v52
	;; [unrolled: 1-line block ×4, first 2 shown]
	ds_write_b64 v0, v[16:17] offset:21600
	v_add_f32_e32 v16, v49, v51
	v_fma_f32 v41, -0.5, v16, v41
	v_add_f32_e32 v16, v52, v54
	v_fmac_f32_e32 v39, 0xbf5db3d7, v20
	v_fmac_f32_e32 v40, 0x3f5db3d7, v21
	v_fmac_f32_e32 v42, -0.5, v16
	ds_write_b64 v18, v[39:40] offset:28800
	v_sub_f32_e32 v18, v52, v54
	v_sub_f32_e32 v20, v49, v51
	v_mov_b32_e32 v16, v41
	v_mov_b32_e32 v17, v42
	v_fmac_f32_e32 v16, 0x3f5db3d7, v18
	v_fmac_f32_e32 v17, 0xbf5db3d7, v20
	;; [unrolled: 1-line block ×4, first 2 shown]
	ds_write_b64 v0, v[16:17] offset:25200
	ds_write_b64 v0, v[41:42] offset:28800
	v_add_f32_e32 v0, v47, v53
	v_add_f32_e32 v16, v0, v55
	;; [unrolled: 1-line block ×4, first 2 shown]
	v_lshl_add_u32 v0, v19, 3, 0
	ds_write_b64 v0, v[16:17] offset:21600
	v_add_f32_e32 v16, v53, v55
	v_fma_f32 v47, -0.5, v16, v47
	v_add_f32_e32 v16, v56, v58
	v_fmac_f32_e32 v48, -0.5, v16
	v_sub_f32_e32 v18, v56, v58
	v_sub_f32_e32 v19, v53, v55
	v_mov_b32_e32 v16, v47
	v_mov_b32_e32 v17, v48
	v_fmac_f32_e32 v16, 0x3f5db3d7, v18
	v_fmac_f32_e32 v17, 0xbf5db3d7, v19
	;; [unrolled: 1-line block ×4, first 2 shown]
	ds_write_b64 v0, v[16:17] offset:25200
	ds_write_b64 v0, v[47:48] offset:28800
	s_movk_i32 s4, 0x2000
	v_lshlrev_b32_e32 v0, 1, v74
	v_add_co_u32_e32 v6, vcc, s4, v6
	v_lshlrev_b64 v[20:21], 3, v[0:1]
	v_addc_co_u32_e32 v7, vcc, 0, v7, vcc
	v_add_co_u32_e32 v0, vcc, s8, v20
	s_waitcnt lgkmcnt(0)
	s_barrier
	global_load_dwordx4 v[16:19], v[6:7], off offset:2528
	v_addc_co_u32_e32 v7, vcc, v15, v21, vcc
	v_add_co_u32_e32 v6, vcc, s4, v0
	v_addc_co_u32_e32 v7, vcc, 0, v7, vcc
	v_lshlrev_b32_e32 v0, 1, v71
	global_load_dwordx4 v[27:30], v[6:7], off offset:2528
	v_lshlrev_b64 v[6:7], 3, v[0:1]
	v_add_co_u32_e32 v0, vcc, s8, v6
	v_addc_co_u32_e32 v7, vcc, v15, v7, vcc
	v_add_co_u32_e32 v6, vcc, s4, v0
	v_lshlrev_b32_e32 v0, 1, v73
	v_lshlrev_b64 v[20:21], 3, v[0:1]
	v_addc_co_u32_e32 v7, vcc, 0, v7, vcc
	v_add_co_u32_e32 v0, vcc, s8, v20
	v_addc_co_u32_e32 v21, vcc, v15, v21, vcc
	v_add_co_u32_e32 v20, vcc, s4, v0
	v_lshlrev_b32_e32 v0, 1, v69
	v_addc_co_u32_e32 v21, vcc, 0, v21, vcc
	global_load_dwordx4 v[31:34], v[6:7], off offset:2528
	global_load_dwordx4 v[35:38], v[20:21], off offset:2528
	v_lshlrev_b64 v[6:7], 3, v[0:1]
	v_add_co_u32_e32 v0, vcc, s8, v6
	v_addc_co_u32_e32 v7, vcc, v15, v7, vcc
	v_add_co_u32_e32 v6, vcc, s4, v0
	v_addc_co_u32_e32 v7, vcc, 0, v7, vcc
	v_lshlrev_b32_e32 v0, 1, v68
	global_load_dwordx4 v[39:42], v[6:7], off offset:2528
	v_lshlrev_b64 v[6:7], 3, v[0:1]
	v_add_co_u32_e32 v0, vcc, s8, v6
	v_addc_co_u32_e32 v7, vcc, v15, v7, vcc
	v_add_co_u32_e32 v6, vcc, s4, v0
	v_addc_co_u32_e32 v7, vcc, 0, v7, vcc
	v_lshlrev_b32_e32 v0, 1, v67
	;; [unrolled: 7-line block ×3, first 2 shown]
	global_load_dwordx4 v[47:50], v[6:7], off offset:2528
	v_lshlrev_b64 v[6:7], 3, v[0:1]
	v_add_co_u32_e32 v0, vcc, s8, v6
	v_addc_co_u32_e32 v7, vcc, v15, v7, vcc
	v_add_co_u32_e32 v6, vcc, s4, v0
	v_addc_co_u32_e32 v7, vcc, 0, v7, vcc
	global_load_dwordx4 v[51:54], v[6:7], off offset:2528
	v_add_co_u32_e32 v2, vcc, s4, v2
	v_addc_co_u32_e32 v3, vcc, 0, v3, vcc
	ds_read2_b64 v[55:58], v72 offset0:84 offset1:219
	ds_read2_b64 v[82:85], v82 offset0:26 offset1:161
	global_load_dwordx4 v[86:89], v[2:3], off offset:2528
	v_add_co_u32_e32 v2, vcc, s4, v4
	v_addc_co_u32_e32 v3, vcc, 0, v5, vcc
	global_load_dwordx4 v[2:5], v[2:3], off offset:2528
	s_waitcnt vmcnt(9) lgkmcnt(1)
	v_mul_f32_e32 v0, v56, v17
	v_mul_f32_e32 v21, v55, v17
	s_waitcnt lgkmcnt(0)
	v_mul_f32_e32 v6, v83, v19
	v_fma_f32 v0, v55, v16, -v0
	v_fmac_f32_e32 v21, v56, v16
	v_fma_f32 v55, v82, v18, -v6
	v_mul_f32_e32 v56, v82, v19
	s_waitcnt vmcnt(8)
	v_mul_f32_e32 v6, v58, v28
	v_fmac_f32_e32 v56, v83, v18
	v_fma_f32 v59, v57, v27, -v6
	v_mul_f32_e32 v57, v57, v28
	v_mul_f32_e32 v6, v85, v30
	ds_read2_b64 v[15:18], v79 offset0:98 offset1:233
	v_mul_f32_e32 v72, v84, v30
	v_fmac_f32_e32 v57, v58, v27
	v_fma_f32 v58, v84, v29, -v6
	v_fmac_f32_e32 v72, v85, v29
	ds_read2_b64 v[27:30], v70 offset0:40 offset1:175
	v_cmp_ne_u32_e32 vcc, 0, v60
	s_waitcnt vmcnt(7) lgkmcnt(1)
	v_mul_f32_e32 v6, v16, v32
	v_fma_f32 v70, v15, v31, -v6
	s_waitcnt lgkmcnt(0)
	v_mul_f32_e32 v6, v28, v34
	v_mul_f32_e32 v79, v15, v32
	v_fma_f32 v82, v27, v33, -v6
	s_waitcnt vmcnt(6)
	v_mul_f32_e32 v6, v18, v36
	v_mul_f32_e32 v85, v17, v36
	v_fmac_f32_e32 v79, v16, v31
	v_mul_f32_e32 v83, v27, v34
	v_fma_f32 v84, v17, v35, -v6
	v_fmac_f32_e32 v85, v18, v35
	v_mul_f32_e32 v6, v30, v38
	ds_read2_b64 v[15:18], v81 offset0:112 offset1:247
	v_mul_f32_e32 v38, v29, v38
	v_fmac_f32_e32 v83, v28, v33
	v_fma_f32 v81, v29, v37, -v6
	v_fmac_f32_e32 v38, v30, v37
	ds_read2_b64 v[27:30], v78 offset0:54 offset1:189
	s_waitcnt vmcnt(5) lgkmcnt(1)
	v_mul_f32_e32 v6, v16, v40
	v_fma_f32 v37, v15, v39, -v6
	v_mul_f32_e32 v40, v15, v40
	v_fmac_f32_e32 v40, v16, v39
	s_waitcnt lgkmcnt(0)
	v_mul_f32_e32 v6, v28, v42
	v_fma_f32 v39, v27, v41, -v6
	v_mul_f32_e32 v42, v27, v42
	s_waitcnt vmcnt(4)
	v_mul_f32_e32 v6, v18, v44
	v_mul_f32_e32 v44, v17, v44
	v_fmac_f32_e32 v42, v28, v41
	v_fma_f32 v41, v17, v43, -v6
	v_fmac_f32_e32 v44, v18, v43
	v_mul_f32_e32 v6, v30, v46
	ds_read2_b64 v[15:18], v65 offset0:62 offset1:197
	v_mul_f32_e32 v46, v29, v46
	v_fma_f32 v43, v29, v45, -v6
	v_fmac_f32_e32 v46, v30, v45
	ds_read2_b64 v[27:30], v80 offset0:68 offset1:203
	s_waitcnt vmcnt(3) lgkmcnt(1)
	v_mul_f32_e32 v6, v16, v48
	v_fma_f32 v45, v15, v47, -v6
	v_mul_f32_e32 v48, v15, v48
	s_waitcnt lgkmcnt(0)
	v_mul_f32_e32 v6, v28, v50
	v_fmac_f32_e32 v48, v16, v47
	v_fma_f32 v47, v27, v49, -v6
	v_mul_f32_e32 v50, v27, v50
	v_fmac_f32_e32 v50, v28, v49
	s_waitcnt vmcnt(2)
	v_mul_f32_e32 v6, v18, v52
	v_fma_f32 v49, v17, v51, -v6
	v_mul_f32_e32 v52, v17, v52
	v_mul_f32_e32 v6, v30, v54
	;; [unrolled: 1-line block ×3, first 2 shown]
	v_fmac_f32_e32 v52, v18, v51
	v_fma_f32 v51, v29, v53, -v6
	v_fmac_f32_e32 v54, v30, v53
	ds_read_b64 v[6:7], v77 offset:10800
	ds_read2_b64 v[15:18], v76 offset0:12 offset1:147
	ds_read_b64 v[19:20], v24
	ds_read_b64 v[27:28], v25
	;; [unrolled: 1-line block ×3, first 2 shown]
	s_waitcnt vmcnt(1) lgkmcnt(4)
	v_mul_f32_e32 v31, v87, v7
	v_fma_f32 v53, v86, v6, -v31
	v_mul_f32_e32 v65, v87, v6
	s_waitcnt lgkmcnt(3)
	v_mul_f32_e32 v6, v89, v16
	v_fmac_f32_e32 v65, v86, v7
	v_fma_f32 v76, v88, v15, -v6
	ds_read2_b32 v[6:7], v26 offset0:154 offset1:155
	v_mul_f32_e32 v78, v89, v15
	s_waitcnt vmcnt(0)
	v_mul_f32_e32 v15, v18, v5
	v_mul_f32_e32 v80, v17, v5
	v_fma_f32 v26, v17, v4, -v15
	v_fmac_f32_e32 v80, v18, v4
	s_waitcnt lgkmcnt(0)
	v_mul_f32_e32 v4, v7, v3
	v_mul_f32_e32 v87, v3, v6
	v_fmac_f32_e32 v78, v88, v16
	v_fma_f32 v86, v2, v6, -v4
	v_fmac_f32_e32 v87, v7, v2
	v_add_f32_e32 v2, v29, v53
	v_add_f32_e32 v3, v30, v65
	;; [unrolled: 1-line block ×4, first 2 shown]
	ds_read_b64 v[4:5], v9
	ds_read_b64 v[6:7], v8
	;; [unrolled: 1-line block ×7, first 2 shown]
	s_waitcnt lgkmcnt(0)
	s_barrier
	ds_write_b64 v77, v[2:3]
	v_add_f32_e32 v2, v53, v76
	v_fma_f32 v29, -0.5, v2, v29
	v_add_f32_e32 v2, v65, v78
	v_fmac_f32_e32 v30, -0.5, v2
	v_sub_f32_e32 v88, v65, v78
	v_sub_f32_e32 v53, v53, v76
	v_mov_b32_e32 v2, v29
	v_mov_b32_e32 v3, v30
	v_fmac_f32_e32 v2, 0x3f5db3d7, v88
	v_fmac_f32_e32 v3, 0xbf5db3d7, v53
	ds_write_b64 v77, v[2:3] offset:10800
	v_add_f32_e32 v2, v33, v86
	v_add_f32_e32 v3, v34, v87
	v_fmac_f32_e32 v29, 0xbf5db3d7, v88
	v_fmac_f32_e32 v30, 0x3f5db3d7, v53
	v_add_f32_e32 v2, v2, v26
	v_add_f32_e32 v3, v3, v80
	ds_write_b64 v77, v[29:30] offset:21600
	ds_write_b64 v11, v[2:3]
	v_add_f32_e32 v2, v86, v26
	v_fma_f32 v33, -0.5, v2, v33
	v_add_f32_e32 v2, v87, v80
	v_fmac_f32_e32 v34, -0.5, v2
	v_sub_f32_e32 v29, v87, v80
	v_sub_f32_e32 v26, v86, v26
	v_mov_b32_e32 v2, v33
	v_mov_b32_e32 v3, v34
	v_fmac_f32_e32 v2, 0x3f5db3d7, v29
	v_fmac_f32_e32 v3, 0xbf5db3d7, v26
	ds_write_b64 v11, v[2:3] offset:10800
	v_add_f32_e32 v2, v31, v0
	v_add_f32_e32 v3, v32, v21
	v_fmac_f32_e32 v33, 0xbf5db3d7, v29
	v_fmac_f32_e32 v34, 0x3f5db3d7, v26
	v_add_f32_e32 v2, v2, v55
	v_add_f32_e32 v3, v3, v56
	ds_write_b64 v11, v[33:34] offset:21600
	ds_write_b64 v10, v[2:3]
	v_add_f32_e32 v2, v0, v55
	v_fma_f32 v31, -0.5, v2, v31
	v_add_f32_e32 v2, v21, v56
	v_fmac_f32_e32 v32, -0.5, v2
	v_sub_f32_e32 v11, v21, v56
	v_sub_f32_e32 v0, v0, v55
	v_mov_b32_e32 v2, v31
	v_mov_b32_e32 v3, v32
	v_fmac_f32_e32 v2, 0x3f5db3d7, v11
	v_fmac_f32_e32 v3, 0xbf5db3d7, v0
	v_fmac_f32_e32 v32, 0x3f5db3d7, v0
	v_add_f32_e32 v0, v27, v59
	ds_write_b64 v10, v[2:3] offset:10800
	v_add_f32_e32 v2, v0, v58
	v_add_f32_e32 v0, v28, v57
	v_fmac_f32_e32 v31, 0xbf5db3d7, v11
	v_add_f32_e32 v3, v0, v72
	ds_write_b64 v10, v[31:32] offset:21600
	ds_write_b64 v25, v[2:3]
	v_add_f32_e32 v0, v59, v58
	v_add_f32_e32 v2, v57, v72
	v_fma_f32 v27, -0.5, v0, v27
	v_fmac_f32_e32 v28, -0.5, v2
	v_sub_f32_e32 v0, v57, v72
	v_sub_f32_e32 v10, v59, v58
	v_mov_b32_e32 v2, v27
	v_mov_b32_e32 v3, v28
	v_fmac_f32_e32 v2, 0x3f5db3d7, v0
	v_fmac_f32_e32 v3, 0xbf5db3d7, v10
	v_fmac_f32_e32 v27, 0xbf5db3d7, v0
	v_add_f32_e32 v0, v4, v70
	ds_write_b64 v25, v[2:3] offset:10800
	v_add_f32_e32 v2, v0, v82
	v_add_f32_e32 v0, v5, v79
	v_fmac_f32_e32 v28, 0x3f5db3d7, v10
	v_add_f32_e32 v3, v0, v83
	ds_write_b64 v25, v[27:28] offset:21600
	ds_write_b64 v9, v[2:3]
	v_add_f32_e32 v0, v70, v82
	v_add_f32_e32 v2, v79, v83
	v_fma_f32 v4, -0.5, v0, v4
	;; [unrolled: 19-line block ×7, first 2 shown]
	v_fmac_f32_e32 v36, -0.5, v2
	v_sub_f32_e32 v0, v52, v54
	v_sub_f32_e32 v4, v49, v51
	v_mov_b32_e32 v2, v35
	v_mov_b32_e32 v3, v36
	v_fmac_f32_e32 v2, 0x3f5db3d7, v0
	v_fmac_f32_e32 v3, 0xbf5db3d7, v4
	;; [unrolled: 1-line block ×4, first 2 shown]
	ds_write_b64 v12, v[2:3] offset:10800
	ds_write_b64 v12, v[35:36] offset:21600
	s_waitcnt lgkmcnt(0)
	s_barrier
	ds_read_b64 v[3:4], v77
	v_sub_u32_e32 v0, 0, v61
                                        ; implicit-def: $vgpr5
                                        ; implicit-def: $vgpr2
	s_and_saveexec_b64 s[4:5], vcc
	s_xor_b64 s[4:5], exec, s[4:5]
	s_cbranch_execz .LBB0_15
; %bb.14:
	v_mov_b32_e32 v61, v1
	v_lshlrev_b64 v[1:2], 3, v[60:61]
	v_mov_b32_e32 v5, s7
	v_add_co_u32_e32 v1, vcc, s6, v1
	v_addc_co_u32_e32 v2, vcc, v5, v2, vcc
	global_load_dwordx2 v[6:7], v[1:2], off
	ds_read_b64 v[1:2], v0 offset:32400
	s_waitcnt lgkmcnt(0)
	v_add_f32_e32 v10, v1, v3
	v_sub_f32_e32 v1, v3, v1
	v_add_f32_e32 v5, v2, v4
	v_sub_f32_e32 v2, v4, v2
	v_mul_f32_e32 v4, 0.5, v1
	v_mul_f32_e32 v1, 0.5, v2
	v_mul_f32_e32 v3, 0.5, v5
	s_waitcnt vmcnt(0)
	v_mul_f32_e32 v2, v7, v4
	v_fma_f32 v11, 0.5, v10, v2
	v_fma_f32 v5, v3, v7, v1
	v_fma_f32 v7, v3, v7, -v1
	v_fma_f32 v1, v10, 0.5, -v2
	v_fmac_f32_e32 v11, v6, v3
	v_fma_f32 v5, -v6, v4, v5
	v_fma_f32 v1, -v6, v3, v1
	ds_write_b32 v77, v11
	v_fma_f32 v2, -v6, v4, v7
                                        ; implicit-def: $vgpr3_vgpr4
.LBB0_15:
	s_or_saveexec_b64 s[4:5], s[4:5]
	v_mul_i32_i24_e32 v6, 0xffffffb8, v64
	v_mul_i32_i24_e32 v7, 0xffffffb8, v75
	s_xor_b64 exec, exec, s[4:5]
	s_cbranch_execz .LBB0_17
; %bb.16:
	v_mov_b32_e32 v5, 0
	ds_read_b32 v2, v5 offset:16204
	s_waitcnt lgkmcnt(1)
	v_add_f32_e32 v10, v3, v4
	v_sub_f32_e32 v1, v3, v4
	ds_write_b32 v77, v10
	s_waitcnt lgkmcnt(1)
	v_xor_b32_e32 v2, 0x80000000, v2
	ds_write_b32 v5, v2 offset:16204
	v_mov_b32_e32 v2, v5
.LBB0_17:
	s_or_b64 exec, exec, s[4:5]
	v_mov_b32_e32 v65, 0
	s_waitcnt lgkmcnt(0)
	v_lshlrev_b64 v[3:4], 3, v[64:65]
	v_mov_b32_e32 v10, s7
	v_add_co_u32_e32 v3, vcc, s6, v3
	v_addc_co_u32_e32 v4, vcc, v10, v4, vcc
	global_load_dwordx2 v[3:4], v[3:4], off
	v_mov_b32_e32 v76, v65
	v_lshlrev_b64 v[10:11], 3, v[75:76]
	v_mov_b32_e32 v15, s7
	v_add_co_u32_e32 v10, vcc, s6, v10
	v_addc_co_u32_e32 v11, vcc, v15, v11, vcc
	global_load_dwordx2 v[10:11], v[10:11], off
	v_mov_b32_e32 v75, v65
	;; [unrolled: 6-line block ×3, first 2 shown]
	v_lshlrev_b64 v[17:18], 3, v[71:72]
	v_add_u32_e32 v7, v23, v7
	v_mov_b32_e32 v23, s7
	v_add_co_u32_e32 v17, vcc, s6, v17
	ds_write_b32 v77, v5 offset:4
	ds_write_b64 v0, v[1:2] offset:32400
	v_add_u32_e32 v26, v22, v6
	v_addc_co_u32_e32 v18, vcc, v23, v18, vcc
	ds_read_b64 v[1:2], v26
	ds_read_b64 v[5:6], v0 offset:31320
	global_load_dwordx2 v[17:18], v[17:18], off
	v_mov_b32_e32 v74, v65
	v_lshlrev_b64 v[19:20], 3, v[73:74]
	v_mov_b32_e32 v27, s7
	s_waitcnt lgkmcnt(0)
	v_add_f32_e32 v23, v1, v5
	v_sub_f32_e32 v1, v1, v5
	v_add_f32_e32 v29, v2, v6
	v_sub_f32_e32 v2, v2, v6
	v_mul_f32_e32 v6, 0.5, v1
	v_mul_f32_e32 v5, 0.5, v29
	;; [unrolled: 1-line block ×3, first 2 shown]
	v_mov_b32_e32 v70, v65
	v_lshlrev_b64 v[21:22], 3, v[69:70]
	v_mov_b32_e32 v28, s7
	v_mov_b32_e32 v69, v65
	v_add_u32_e32 v64, 0x546, v60
	s_waitcnt vmcnt(3)
	v_mul_f32_e32 v29, v4, v6
	v_fma_f32 v2, v5, v4, v1
	v_fma_f32 v4, v5, v4, -v1
	v_fma_f32 v1, 0.5, v23, v29
	v_fma_f32 v2, -v3, v6, v2
	v_fma_f32 v23, v23, 0.5, -v29
	v_fmac_f32_e32 v1, v3, v5
	v_fma_f32 v4, -v3, v6, v4
	v_fma_f32 v3, -v3, v5, v23
	ds_write_b64 v26, v[1:2]
	ds_write_b64 v0, v[3:4] offset:31320
	ds_read_b64 v[1:2], v7
	ds_read_b64 v[3:4], v0 offset:30240
	v_add_co_u32_e32 v5, vcc, s6, v19
	v_addc_co_u32_e32 v6, vcc, v27, v20, vcc
	global_load_dwordx2 v[5:6], v[5:6], off
	s_waitcnt lgkmcnt(0)
	v_add_f32_e32 v19, v1, v3
	v_sub_f32_e32 v1, v1, v3
	v_add_f32_e32 v20, v2, v4
	v_sub_f32_e32 v2, v2, v4
	v_mul_f32_e32 v4, 0.5, v1
	v_mul_f32_e32 v3, 0.5, v20
	;; [unrolled: 1-line block ×3, first 2 shown]
	s_waitcnt vmcnt(3)
	v_mul_f32_e32 v20, v11, v4
	v_fma_f32 v2, v3, v11, v1
	v_fma_f32 v11, v3, v11, -v1
	v_fma_f32 v1, 0.5, v19, v20
	v_fma_f32 v2, -v10, v4, v2
	v_fma_f32 v19, v19, 0.5, -v20
	v_fmac_f32_e32 v1, v10, v3
	v_fma_f32 v4, -v10, v4, v11
	v_fma_f32 v3, -v10, v3, v19
	ds_write_b64 v7, v[1:2]
	ds_write_b64 v0, v[3:4] offset:30240
	ds_read_b64 v[1:2], v25
	ds_read_b64 v[3:4], v0 offset:29160
	v_add_co_u32_e32 v10, vcc, s6, v21
	v_addc_co_u32_e32 v11, vcc, v28, v22, vcc
	global_load_dwordx2 v[10:11], v[10:11], off
	s_waitcnt lgkmcnt(0)
	v_add_f32_e32 v7, v1, v3
	v_sub_f32_e32 v1, v1, v3
	v_add_f32_e32 v19, v2, v4
	v_sub_f32_e32 v2, v2, v4
	v_mul_f32_e32 v4, 0.5, v1
	v_mul_f32_e32 v3, 0.5, v19
	;; [unrolled: 1-line block ×3, first 2 shown]
	s_waitcnt vmcnt(3)
	v_mul_f32_e32 v19, v16, v4
	v_fma_f32 v2, v3, v16, v1
	v_fma_f32 v16, v3, v16, -v1
	v_fma_f32 v1, 0.5, v7, v19
	v_fma_f32 v7, v7, 0.5, -v19
	v_fma_f32 v2, -v15, v4, v2
	v_fmac_f32_e32 v1, v15, v3
	v_fma_f32 v3, -v15, v3, v7
	v_fma_f32 v4, -v15, v4, v16
	ds_write_b64 v25, v[1:2]
	ds_write_b64 v0, v[3:4] offset:29160
	ds_read_b64 v[1:2], v9
	ds_read_b64 v[3:4], v0 offset:28080
	s_waitcnt lgkmcnt(0)
	v_add_f32_e32 v7, v1, v3
	v_sub_f32_e32 v1, v1, v3
	v_add_f32_e32 v15, v2, v4
	v_sub_f32_e32 v2, v2, v4
	v_mul_f32_e32 v16, 0.5, v1
	v_mul_f32_e32 v15, 0.5, v15
	;; [unrolled: 1-line block ×3, first 2 shown]
	s_waitcnt vmcnt(2)
	v_mul_f32_e32 v4, v18, v16
	v_fma_f32 v1, 0.5, v7, v4
	v_fma_f32 v2, v15, v18, v3
	v_fmac_f32_e32 v1, v17, v15
	v_fma_f32 v2, -v17, v16, v2
	ds_write_b64 v9, v[1:2]
	v_fma_f32 v1, v7, 0.5, -v4
	v_fma_f32 v7, v15, v18, -v3
	v_lshlrev_b64 v[2:3], 3, v[68:69]
	v_mov_b32_e32 v4, s7
	v_add_co_u32_e32 v2, vcc, s6, v2
	v_addc_co_u32_e32 v3, vcc, v4, v3, vcc
	global_load_dwordx2 v[3:4], v[2:3], off
	v_fma_f32 v1, -v17, v15, v1
	v_fma_f32 v2, -v17, v16, v7
	ds_write_b64 v0, v[1:2] offset:28080
	ds_read_b64 v[1:2], v8
	ds_read_b64 v[15:16], v0 offset:27000
	v_mov_b32_e32 v68, v65
	s_waitcnt lgkmcnt(0)
	v_add_f32_e32 v7, v1, v15
	v_add_f32_e32 v9, v2, v16
	v_sub_f32_e32 v1, v1, v15
	v_sub_f32_e32 v2, v2, v16
	v_mul_f32_e32 v17, 0.5, v1
	v_mul_f32_e32 v18, 0.5, v2
	v_lshlrev_b64 v[1:2], 3, v[67:68]
	v_mul_f32_e32 v9, 0.5, v9
	v_mov_b32_e32 v15, s7
	v_add_co_u32_e32 v1, vcc, s6, v1
	s_waitcnt vmcnt(2)
	v_mul_f32_e32 v19, v6, v17
	v_addc_co_u32_e32 v2, vcc, v15, v2, vcc
	v_fma_f32 v15, 0.5, v7, v19
	v_fma_f32 v16, v9, v6, v18
	v_fmac_f32_e32 v15, v5, v9
	v_fma_f32 v16, -v5, v17, v16
	v_fma_f32 v7, v7, 0.5, -v19
	v_fma_f32 v6, v9, v6, -v18
	global_load_dwordx2 v[1:2], v[1:2], off
	ds_write_b64 v8, v[15:16]
	v_fma_f32 v7, -v5, v9, v7
	v_fma_f32 v8, -v5, v17, v6
	ds_write_b64 v0, v[7:8] offset:27000
	ds_read_b64 v[5:6], v24
	ds_read_b64 v[7:8], v0 offset:25920
	v_mov_b32_e32 v67, v65
	s_waitcnt lgkmcnt(0)
	v_add_f32_e32 v9, v5, v7
	v_sub_f32_e32 v5, v5, v7
	v_add_f32_e32 v15, v6, v8
	v_sub_f32_e32 v6, v6, v8
	v_mul_f32_e32 v7, 0.5, v5
	v_mul_f32_e32 v15, 0.5, v15
	;; [unrolled: 1-line block ×3, first 2 shown]
	s_waitcnt vmcnt(2)
	v_mul_f32_e32 v16, v11, v7
	v_fma_f32 v5, 0.5, v9, v16
	v_fma_f32 v6, v15, v11, v8
	v_fmac_f32_e32 v5, v10, v15
	v_fma_f32 v6, -v10, v7, v6
	ds_write_b64 v24, v[5:6]
	v_fma_f32 v5, v9, 0.5, -v16
	v_fma_f32 v6, v15, v11, -v8
	v_fma_f32 v5, -v10, v15, v5
	v_fma_f32 v6, -v10, v7, v6
	v_lshlrev_b64 v[9:10], 3, v[66:67]
	v_mov_b32_e32 v11, s7
	v_add_co_u32_e32 v9, vcc, s6, v9
	ds_write_b64 v0, v[5:6] offset:25920
	v_addc_co_u32_e32 v10, vcc, v11, v10, vcc
	ds_read_b64 v[5:6], v14
	ds_read_b64 v[7:8], v0 offset:24840
	global_load_dwordx2 v[9:10], v[9:10], off
	s_waitcnt lgkmcnt(0)
	v_add_f32_e32 v11, v5, v7
	v_sub_f32_e32 v5, v5, v7
	v_add_f32_e32 v15, v6, v8
	v_sub_f32_e32 v6, v6, v8
	v_mul_f32_e32 v7, 0.5, v5
	v_mul_f32_e32 v15, 0.5, v15
	;; [unrolled: 1-line block ×3, first 2 shown]
	s_waitcnt vmcnt(2)
	v_mul_f32_e32 v16, v4, v7
	v_fma_f32 v5, 0.5, v11, v16
	v_fma_f32 v6, v15, v4, v8
	v_fmac_f32_e32 v5, v3, v15
	v_fma_f32 v6, -v3, v7, v6
	v_fma_f32 v4, v15, v4, -v8
	ds_write_b64 v14, v[5:6]
	v_fma_f32 v6, -v3, v7, v4
	v_lshlrev_b64 v[7:8], 3, v[64:65]
	v_fma_f32 v5, v11, 0.5, -v16
	v_fma_f32 v5, -v3, v15, v5
	v_mov_b32_e32 v11, s7
	v_add_co_u32_e32 v7, vcc, s6, v7
	ds_write_b64 v0, v[5:6] offset:24840
	v_addc_co_u32_e32 v8, vcc, v11, v8, vcc
	ds_read_b64 v[3:4], v13
	ds_read_b64 v[5:6], v0 offset:23760
	global_load_dwordx2 v[7:8], v[7:8], off
	v_add_u32_e32 v64, 0x5cd, v60
	s_waitcnt lgkmcnt(0)
	v_add_f32_e32 v11, v3, v5
	v_sub_f32_e32 v3, v3, v5
	v_add_f32_e32 v14, v4, v6
	v_sub_f32_e32 v4, v4, v6
	v_mul_f32_e32 v5, 0.5, v3
	v_mul_f32_e32 v14, 0.5, v14
	;; [unrolled: 1-line block ×3, first 2 shown]
	s_waitcnt vmcnt(2)
	v_mul_f32_e32 v15, v2, v5
	v_fma_f32 v3, 0.5, v11, v15
	v_fma_f32 v4, v14, v2, v6
	v_fmac_f32_e32 v3, v1, v14
	v_fma_f32 v4, -v1, v5, v4
	v_fma_f32 v2, v14, v2, -v6
	ds_write_b64 v13, v[3:4]
	v_fma_f32 v4, -v1, v5, v2
	v_lshlrev_b64 v[5:6], 3, v[64:65]
	v_fma_f32 v3, v11, 0.5, -v15
	v_fma_f32 v3, -v1, v14, v3
	v_mov_b32_e32 v11, s7
	v_add_co_u32_e32 v5, vcc, s6, v5
	ds_write_b64 v0, v[3:4] offset:23760
	v_addc_co_u32_e32 v6, vcc, v11, v6, vcc
	ds_read_b64 v[1:2], v12
	ds_read_b64 v[3:4], v0 offset:22680
	global_load_dwordx2 v[5:6], v[5:6], off
	v_add_u32_e32 v64, 0x654, v60
	s_waitcnt lgkmcnt(0)
	v_add_f32_e32 v11, v1, v3
	v_add_f32_e32 v13, v2, v4
	v_sub_f32_e32 v1, v1, v3
	v_sub_f32_e32 v2, v2, v4
	v_mul_f32_e32 v14, 0.5, v1
	v_mul_f32_e32 v15, 0.5, v2
	v_lshlrev_b64 v[1:2], 3, v[64:65]
	v_mul_f32_e32 v13, 0.5, v13
	v_mov_b32_e32 v3, s7
	v_add_co_u32_e32 v1, vcc, s6, v1
	v_addc_co_u32_e32 v2, vcc, v3, v2, vcc
	global_load_dwordx2 v[1:2], v[1:2], off
	s_waitcnt vmcnt(3)
	v_mul_f32_e32 v16, v10, v14
	v_fma_f32 v3, 0.5, v11, v16
	v_fma_f32 v4, v13, v10, v15
	v_fmac_f32_e32 v3, v9, v13
	v_fma_f32 v4, -v9, v14, v4
	ds_write_b64 v12, v[3:4]
	v_fma_f32 v3, v11, 0.5, -v16
	v_fma_f32 v4, v13, v10, -v15
	v_fma_f32 v3, -v9, v13, v3
	v_fma_f32 v4, -v9, v14, v4
	ds_write_b64 v0, v[3:4] offset:22680
	ds_read_b64 v[3:4], v77 offset:10800
	ds_read_b64 v[9:10], v0 offset:21600
	v_add_u32_e32 v64, 0x6db, v60
	s_waitcnt lgkmcnt(0)
	v_add_f32_e32 v11, v4, v10
	v_mul_f32_e32 v14, 0.5, v11
	v_lshlrev_b64 v[11:12], 3, v[64:65]
	v_add_f32_e32 v13, v3, v9
	v_sub_f32_e32 v3, v3, v9
	v_mov_b32_e32 v9, s7
	v_add_co_u32_e32 v11, vcc, s6, v11
	v_addc_co_u32_e32 v12, vcc, v9, v12, vcc
	global_load_dwordx2 v[11:12], v[11:12], off
	v_sub_f32_e32 v4, v4, v10
	v_mul_f32_e32 v9, 0.5, v3
	v_mul_f32_e32 v10, 0.5, v4
	v_add_u32_e32 v64, 0x762, v60
	s_waitcnt vmcnt(3)
	v_mul_f32_e32 v15, v8, v9
	v_fma_f32 v3, 0.5, v13, v15
	v_fma_f32 v4, v14, v8, v10
	v_fmac_f32_e32 v3, v7, v14
	v_fma_f32 v4, -v7, v9, v4
	ds_write_b64 v77, v[3:4] offset:10800
	v_fma_f32 v4, v14, v8, -v10
	v_fma_f32 v4, -v7, v9, v4
	v_lshlrev_b64 v[9:10], 3, v[64:65]
	v_fma_f32 v3, v13, 0.5, -v15
	v_fma_f32 v3, -v7, v14, v3
	v_mov_b32_e32 v13, s7
	v_add_co_u32_e32 v9, vcc, s6, v9
	ds_write_b64 v0, v[3:4] offset:21600
	v_addc_co_u32_e32 v10, vcc, v13, v10, vcc
	ds_read_b64 v[3:4], v77 offset:11880
	ds_read_b64 v[7:8], v0 offset:20520
	global_load_dwordx2 v[9:10], v[9:10], off
	s_waitcnt lgkmcnt(0)
	v_add_f32_e32 v13, v3, v7
	v_sub_f32_e32 v3, v3, v7
	v_add_f32_e32 v14, v4, v8
	v_sub_f32_e32 v4, v4, v8
	v_mul_f32_e32 v7, 0.5, v3
	v_mul_f32_e32 v14, 0.5, v14
	v_mul_f32_e32 v8, 0.5, v4
	s_waitcnt vmcnt(3)
	v_mul_f32_e32 v15, v6, v7
	v_fma_f32 v3, 0.5, v13, v15
	v_fma_f32 v4, v14, v6, v8
	v_fmac_f32_e32 v3, v5, v14
	v_fma_f32 v4, -v5, v7, v4
	ds_write_b64 v77, v[3:4] offset:11880
	v_fma_f32 v3, v13, 0.5, -v15
	v_fma_f32 v4, v14, v6, -v8
	v_fma_f32 v3, -v5, v14, v3
	v_fma_f32 v4, -v5, v7, v4
	ds_write_b64 v0, v[3:4] offset:20520
	ds_read_b64 v[3:4], v77 offset:12960
	ds_read_b64 v[5:6], v0 offset:19440
	s_waitcnt lgkmcnt(0)
	v_add_f32_e32 v7, v3, v5
	v_sub_f32_e32 v3, v3, v5
	v_add_f32_e32 v8, v4, v6
	v_sub_f32_e32 v4, v4, v6
	v_mul_f32_e32 v5, 0.5, v3
	v_mul_f32_e32 v8, 0.5, v8
	v_mul_f32_e32 v6, 0.5, v4
	s_waitcnt vmcnt(2)
	v_mul_f32_e32 v13, v2, v5
	v_fma_f32 v3, 0.5, v7, v13
	v_fma_f32 v4, v8, v2, v6
	v_fmac_f32_e32 v3, v1, v8
	v_fma_f32 v4, -v1, v5, v4
	ds_write_b64 v77, v[3:4] offset:12960
	v_fma_f32 v3, v7, 0.5, -v13
	v_fma_f32 v2, v8, v2, -v6
	v_fma_f32 v3, -v1, v8, v3
	v_fma_f32 v4, -v1, v5, v2
	ds_write_b64 v0, v[3:4] offset:19440
	ds_read_b64 v[1:2], v77 offset:14040
	ds_read_b64 v[3:4], v0 offset:18360
	;; [unrolled: 22-line block ×3, first 2 shown]
	s_waitcnt lgkmcnt(0)
	v_add_f32_e32 v5, v1, v3
	v_sub_f32_e32 v1, v1, v3
	v_add_f32_e32 v6, v2, v4
	v_sub_f32_e32 v2, v2, v4
	v_mul_f32_e32 v3, 0.5, v1
	v_mul_f32_e32 v6, 0.5, v6
	v_mul_f32_e32 v4, 0.5, v2
	s_waitcnt vmcnt(0)
	v_mul_f32_e32 v7, v10, v3
	v_fma_f32 v1, 0.5, v5, v7
	v_fma_f32 v2, v6, v10, v4
	v_fmac_f32_e32 v1, v9, v6
	v_fma_f32 v2, -v9, v3, v2
	ds_write_b64 v77, v[1:2] offset:15120
	v_fma_f32 v1, v5, 0.5, -v7
	v_fma_f32 v2, v6, v10, -v4
	v_fma_f32 v1, -v9, v6, v1
	v_fma_f32 v2, -v9, v3, v2
	ds_write_b64 v0, v[1:2] offset:17280
	s_waitcnt lgkmcnt(0)
	s_barrier
	s_and_saveexec_b64 s[4:5], s[0:1]
	s_cbranch_execz .LBB0_20
; %bb.18:
	v_mov_b32_e32 v61, v65
	ds_read2_b64 v[2:5], v77 offset1:135
	v_mov_b32_e32 v0, s3
	v_add_co_u32_e32 v1, vcc, s2, v62
	v_lshlrev_b64 v[10:11], 3, v[60:61]
	v_add_u32_e32 v6, 0x800, v77
	v_addc_co_u32_e32 v0, vcc, v0, v63, vcc
	ds_read2_b64 v[6:9], v6 offset0:14 offset1:149
	v_add_co_u32_e32 v14, vcc, v1, v10
	v_addc_co_u32_e32 v15, vcc, v0, v11, vcc
	s_waitcnt lgkmcnt(1)
	global_store_dwordx2 v[14:15], v[2:3], off
	global_store_dwordx2 v[14:15], v[4:5], off offset:1080
	s_waitcnt lgkmcnt(0)
	global_store_dwordx2 v[14:15], v[6:7], off offset:2160
	global_store_dwordx2 v[14:15], v[8:9], off offset:3240
	v_add_u32_e32 v2, 0x1000, v77
	ds_read2_b64 v[2:5], v2 offset0:28 offset1:163
	v_add_u32_e32 v6, 0x1800, v77
	s_movk_i32 s0, 0x1000
	ds_read2_b64 v[6:9], v6 offset0:42 offset1:177
	v_add_co_u32_e32 v10, vcc, s0, v14
	v_addc_co_u32_e32 v11, vcc, 0, v15, vcc
	s_waitcnt lgkmcnt(1)
	global_store_dwordx2 v[10:11], v[2:3], off offset:224
	global_store_dwordx2 v[10:11], v[4:5], off offset:1304
	s_waitcnt lgkmcnt(0)
	global_store_dwordx2 v[10:11], v[6:7], off offset:2384
	global_store_dwordx2 v[10:11], v[8:9], off offset:3464
	v_add_u32_e32 v2, 0x2000, v77
	ds_read2_b64 v[2:5], v2 offset0:56 offset1:191
	v_add_u32_e32 v6, 0x2800, v77
	s_movk_i32 s0, 0x2000
	ds_read2_b64 v[6:9], v6 offset0:70 offset1:205
	v_add_co_u32_e32 v10, vcc, s0, v14
	v_addc_co_u32_e32 v11, vcc, 0, v15, vcc
	s_waitcnt lgkmcnt(1)
	global_store_dwordx2 v[10:11], v[2:3], off offset:448
	;; [unrolled: 13-line block ×4, first 2 shown]
	global_store_dwordx2 v[10:11], v[4:5], off offset:1976
	s_waitcnt lgkmcnt(0)
	global_store_dwordx2 v[10:11], v[6:7], off offset:3056
	v_add_u32_e32 v2, 0x5400, v77
	ds_read2_b64 v[2:5], v2 offset0:12 offset1:147
	s_movk_i32 s0, 0x5000
	v_add_u32_e32 v6, 0x5c00, v77
	ds_read2_b64 v[10:13], v6 offset0:26 offset1:161
	v_add_co_u32_e32 v6, vcc, s0, v14
	v_addc_co_u32_e32 v7, vcc, 0, v15, vcc
	global_store_dwordx2 v[6:7], v[8:9], off offset:40
	s_waitcnt lgkmcnt(1)
	global_store_dwordx2 v[6:7], v[2:3], off offset:1120
	global_store_dwordx2 v[6:7], v[4:5], off offset:2200
	s_waitcnt lgkmcnt(0)
	global_store_dwordx2 v[6:7], v[10:11], off offset:3280
	v_add_u32_e32 v2, 0x6400, v77
	ds_read2_b64 v[2:5], v2 offset0:40 offset1:175
	s_movk_i32 s0, 0x6000
	v_add_u32_e32 v6, 0x6c00, v77
	ds_read2_b64 v[6:9], v6 offset0:54 offset1:189
	v_add_co_u32_e32 v10, vcc, s0, v14
	v_addc_co_u32_e32 v11, vcc, 0, v15, vcc
	global_store_dwordx2 v[10:11], v[12:13], off offset:264
	s_waitcnt lgkmcnt(1)
	global_store_dwordx2 v[10:11], v[2:3], off offset:1344
	global_store_dwordx2 v[10:11], v[4:5], off offset:2424
	s_waitcnt lgkmcnt(0)
	global_store_dwordx2 v[10:11], v[6:7], off offset:3504
	v_add_u32_e32 v2, 0x7400, v77
	ds_read2_b64 v[2:5], v2 offset0:68 offset1:203
	v_add_co_u32_e32 v6, vcc, 0x7000, v14
	v_addc_co_u32_e32 v7, vcc, 0, v15, vcc
	s_movk_i32 s0, 0x86
	v_cmp_eq_u32_e32 vcc, s0, v60
	global_store_dwordx2 v[6:7], v[8:9], off offset:488
	s_waitcnt lgkmcnt(0)
	global_store_dwordx2 v[6:7], v[2:3], off offset:1568
	global_store_dwordx2 v[6:7], v[4:5], off offset:2648
	s_and_b64 exec, exec, vcc
	s_cbranch_execz .LBB0_20
; %bb.19:
	v_mov_b32_e32 v2, 0
	ds_read_b64 v[2:3], v2 offset:32400
	v_add_co_u32_e32 v4, vcc, 0x7000, v1
	v_addc_co_u32_e32 v5, vcc, 0, v0, vcc
	s_waitcnt lgkmcnt(0)
	global_store_dwordx2 v[4:5], v[2:3], off offset:3728
.LBB0_20:
	s_endpgm
	.section	.rodata,"a",@progbits
	.p2align	6, 0x0
	.amdhsa_kernel fft_rtc_fwd_len4050_factors_10_5_3_3_3_3_wgs_135_tpt_135_halfLds_sp_ip_CI_unitstride_sbrr_R2C_dirReg
		.amdhsa_group_segment_fixed_size 0
		.amdhsa_private_segment_fixed_size 0
		.amdhsa_kernarg_size 88
		.amdhsa_user_sgpr_count 6
		.amdhsa_user_sgpr_private_segment_buffer 1
		.amdhsa_user_sgpr_dispatch_ptr 0
		.amdhsa_user_sgpr_queue_ptr 0
		.amdhsa_user_sgpr_kernarg_segment_ptr 1
		.amdhsa_user_sgpr_dispatch_id 0
		.amdhsa_user_sgpr_flat_scratch_init 0
		.amdhsa_user_sgpr_private_segment_size 0
		.amdhsa_uses_dynamic_stack 0
		.amdhsa_system_sgpr_private_segment_wavefront_offset 0
		.amdhsa_system_sgpr_workgroup_id_x 1
		.amdhsa_system_sgpr_workgroup_id_y 0
		.amdhsa_system_sgpr_workgroup_id_z 0
		.amdhsa_system_sgpr_workgroup_info 0
		.amdhsa_system_vgpr_workitem_id 0
		.amdhsa_next_free_vgpr 125
		.amdhsa_next_free_sgpr 22
		.amdhsa_reserve_vcc 1
		.amdhsa_reserve_flat_scratch 0
		.amdhsa_float_round_mode_32 0
		.amdhsa_float_round_mode_16_64 0
		.amdhsa_float_denorm_mode_32 3
		.amdhsa_float_denorm_mode_16_64 3
		.amdhsa_dx10_clamp 1
		.amdhsa_ieee_mode 1
		.amdhsa_fp16_overflow 0
		.amdhsa_exception_fp_ieee_invalid_op 0
		.amdhsa_exception_fp_denorm_src 0
		.amdhsa_exception_fp_ieee_div_zero 0
		.amdhsa_exception_fp_ieee_overflow 0
		.amdhsa_exception_fp_ieee_underflow 0
		.amdhsa_exception_fp_ieee_inexact 0
		.amdhsa_exception_int_div_zero 0
	.end_amdhsa_kernel
	.text
.Lfunc_end0:
	.size	fft_rtc_fwd_len4050_factors_10_5_3_3_3_3_wgs_135_tpt_135_halfLds_sp_ip_CI_unitstride_sbrr_R2C_dirReg, .Lfunc_end0-fft_rtc_fwd_len4050_factors_10_5_3_3_3_3_wgs_135_tpt_135_halfLds_sp_ip_CI_unitstride_sbrr_R2C_dirReg
                                        ; -- End function
	.section	.AMDGPU.csdata,"",@progbits
; Kernel info:
; codeLenInByte = 20540
; NumSgprs: 26
; NumVgprs: 125
; ScratchSize: 0
; MemoryBound: 0
; FloatMode: 240
; IeeeMode: 1
; LDSByteSize: 0 bytes/workgroup (compile time only)
; SGPRBlocks: 3
; VGPRBlocks: 31
; NumSGPRsForWavesPerEU: 26
; NumVGPRsForWavesPerEU: 125
; Occupancy: 2
; WaveLimiterHint : 1
; COMPUTE_PGM_RSRC2:SCRATCH_EN: 0
; COMPUTE_PGM_RSRC2:USER_SGPR: 6
; COMPUTE_PGM_RSRC2:TRAP_HANDLER: 0
; COMPUTE_PGM_RSRC2:TGID_X_EN: 1
; COMPUTE_PGM_RSRC2:TGID_Y_EN: 0
; COMPUTE_PGM_RSRC2:TGID_Z_EN: 0
; COMPUTE_PGM_RSRC2:TIDIG_COMP_CNT: 0
	.type	__hip_cuid_7cd6f4f67064bd70,@object ; @__hip_cuid_7cd6f4f67064bd70
	.section	.bss,"aw",@nobits
	.globl	__hip_cuid_7cd6f4f67064bd70
__hip_cuid_7cd6f4f67064bd70:
	.byte	0                               ; 0x0
	.size	__hip_cuid_7cd6f4f67064bd70, 1

	.ident	"AMD clang version 19.0.0git (https://github.com/RadeonOpenCompute/llvm-project roc-6.4.0 25133 c7fe45cf4b819c5991fe208aaa96edf142730f1d)"
	.section	".note.GNU-stack","",@progbits
	.addrsig
	.addrsig_sym __hip_cuid_7cd6f4f67064bd70
	.amdgpu_metadata
---
amdhsa.kernels:
  - .args:
      - .actual_access:  read_only
        .address_space:  global
        .offset:         0
        .size:           8
        .value_kind:     global_buffer
      - .offset:         8
        .size:           8
        .value_kind:     by_value
      - .actual_access:  read_only
        .address_space:  global
        .offset:         16
        .size:           8
        .value_kind:     global_buffer
      - .actual_access:  read_only
        .address_space:  global
        .offset:         24
        .size:           8
        .value_kind:     global_buffer
      - .offset:         32
        .size:           8
        .value_kind:     by_value
      - .actual_access:  read_only
        .address_space:  global
        .offset:         40
        .size:           8
        .value_kind:     global_buffer
      - .actual_access:  read_only
        .address_space:  global
        .offset:         48
        .size:           8
        .value_kind:     global_buffer
      - .offset:         56
        .size:           4
        .value_kind:     by_value
      - .actual_access:  read_only
        .address_space:  global
        .offset:         64
        .size:           8
        .value_kind:     global_buffer
      - .actual_access:  read_only
        .address_space:  global
        .offset:         72
        .size:           8
        .value_kind:     global_buffer
      - .address_space:  global
        .offset:         80
        .size:           8
        .value_kind:     global_buffer
    .group_segment_fixed_size: 0
    .kernarg_segment_align: 8
    .kernarg_segment_size: 88
    .language:       OpenCL C
    .language_version:
      - 2
      - 0
    .max_flat_workgroup_size: 135
    .name:           fft_rtc_fwd_len4050_factors_10_5_3_3_3_3_wgs_135_tpt_135_halfLds_sp_ip_CI_unitstride_sbrr_R2C_dirReg
    .private_segment_fixed_size: 0
    .sgpr_count:     26
    .sgpr_spill_count: 0
    .symbol:         fft_rtc_fwd_len4050_factors_10_5_3_3_3_3_wgs_135_tpt_135_halfLds_sp_ip_CI_unitstride_sbrr_R2C_dirReg.kd
    .uniform_work_group_size: 1
    .uses_dynamic_stack: false
    .vgpr_count:     125
    .vgpr_spill_count: 0
    .wavefront_size: 64
amdhsa.target:   amdgcn-amd-amdhsa--gfx906
amdhsa.version:
  - 1
  - 2
...

	.end_amdgpu_metadata
